;; amdgpu-corpus repo=ROCm/rocFFT kind=compiled arch=gfx950 opt=O3
	.text
	.amdgcn_target "amdgcn-amd-amdhsa--gfx950"
	.amdhsa_code_object_version 6
	.protected	fft_rtc_fwd_len1092_factors_2_2_13_7_3_wgs_52_tpt_52_halfLds_sp_ip_CI_sbrr_dirReg ; -- Begin function fft_rtc_fwd_len1092_factors_2_2_13_7_3_wgs_52_tpt_52_halfLds_sp_ip_CI_sbrr_dirReg
	.globl	fft_rtc_fwd_len1092_factors_2_2_13_7_3_wgs_52_tpt_52_halfLds_sp_ip_CI_sbrr_dirReg
	.p2align	8
	.type	fft_rtc_fwd_len1092_factors_2_2_13_7_3_wgs_52_tpt_52_halfLds_sp_ip_CI_sbrr_dirReg,@function
fft_rtc_fwd_len1092_factors_2_2_13_7_3_wgs_52_tpt_52_halfLds_sp_ip_CI_sbrr_dirReg: ; @fft_rtc_fwd_len1092_factors_2_2_13_7_3_wgs_52_tpt_52_halfLds_sp_ip_CI_sbrr_dirReg
; %bb.0:
	s_load_dwordx2 s[12:13], s[0:1], 0x18
	s_load_dwordx4 s[4:7], s[0:1], 0x0
	s_load_dwordx2 s[10:11], s[0:1], 0x50
	v_mul_u32_u24_e32 v1, 0x4ed, v0
	v_add_u32_sdwa v6, s2, v1 dst_sel:DWORD dst_unused:UNUSED_PAD src0_sel:DWORD src1_sel:WORD_1
	s_waitcnt lgkmcnt(0)
	s_load_dwordx2 s[8:9], s[12:13], 0x0
	v_mov_b32_e32 v4, 0
	v_cmp_lt_u64_e64 s[2:3], s[6:7], 2
	v_mov_b32_e32 v7, v4
	s_and_b64 vcc, exec, s[2:3]
	v_mov_b64_e32 v[2:3], 0
	s_cbranch_vccnz .LBB0_8
; %bb.1:
	s_load_dwordx2 s[2:3], s[0:1], 0x10
	s_add_u32 s14, s12, 8
	s_addc_u32 s15, s13, 0
	s_mov_b64 s[16:17], 1
	v_mov_b64_e32 v[2:3], 0
	s_waitcnt lgkmcnt(0)
	s_add_u32 s18, s2, 8
	s_addc_u32 s19, s3, 0
.LBB0_2:                                ; =>This Inner Loop Header: Depth=1
	s_load_dwordx2 s[20:21], s[18:19], 0x0
                                        ; implicit-def: $vgpr8_vgpr9
	s_waitcnt lgkmcnt(0)
	v_or_b32_e32 v5, s21, v7
	v_cmp_ne_u64_e32 vcc, 0, v[4:5]
	s_and_saveexec_b64 s[2:3], vcc
	s_xor_b64 s[22:23], exec, s[2:3]
	s_cbranch_execz .LBB0_4
; %bb.3:                                ;   in Loop: Header=BB0_2 Depth=1
	v_cvt_f32_u32_e32 v1, s20
	v_cvt_f32_u32_e32 v5, s21
	s_sub_u32 s2, 0, s20
	s_subb_u32 s3, 0, s21
	v_fmac_f32_e32 v1, 0x4f800000, v5
	v_rcp_f32_e32 v1, v1
	s_nop 0
	v_mul_f32_e32 v1, 0x5f7ffffc, v1
	v_mul_f32_e32 v5, 0x2f800000, v1
	v_trunc_f32_e32 v5, v5
	v_fmac_f32_e32 v1, 0xcf800000, v5
	v_cvt_u32_f32_e32 v5, v5
	v_cvt_u32_f32_e32 v1, v1
	v_mul_lo_u32 v8, s2, v5
	v_mul_hi_u32 v10, s2, v1
	v_mul_lo_u32 v9, s3, v1
	v_add_u32_e32 v10, v10, v8
	v_mul_lo_u32 v12, s2, v1
	v_add_u32_e32 v13, v10, v9
	v_mul_hi_u32 v8, v1, v12
	v_mul_hi_u32 v11, v1, v13
	v_mul_lo_u32 v10, v1, v13
	v_mov_b32_e32 v9, v4
	v_lshl_add_u64 v[8:9], v[8:9], 0, v[10:11]
	v_mul_hi_u32 v11, v5, v12
	v_mul_lo_u32 v12, v5, v12
	v_add_co_u32_e32 v8, vcc, v8, v12
	v_mul_hi_u32 v10, v5, v13
	s_nop 0
	v_addc_co_u32_e32 v8, vcc, v9, v11, vcc
	v_mov_b32_e32 v9, v4
	s_nop 0
	v_addc_co_u32_e32 v11, vcc, 0, v10, vcc
	v_mul_lo_u32 v10, v5, v13
	v_lshl_add_u64 v[8:9], v[8:9], 0, v[10:11]
	v_add_co_u32_e32 v1, vcc, v1, v8
	v_mul_lo_u32 v10, s2, v1
	s_nop 0
	v_addc_co_u32_e32 v5, vcc, v5, v9, vcc
	v_mul_lo_u32 v8, s2, v5
	v_mul_hi_u32 v9, s2, v1
	v_add_u32_e32 v8, v9, v8
	v_mul_lo_u32 v9, s3, v1
	v_add_u32_e32 v12, v8, v9
	v_mul_hi_u32 v14, v5, v10
	v_mul_lo_u32 v15, v5, v10
	v_mul_hi_u32 v9, v1, v12
	v_mul_lo_u32 v8, v1, v12
	v_mul_hi_u32 v10, v1, v10
	v_mov_b32_e32 v11, v4
	v_lshl_add_u64 v[8:9], v[10:11], 0, v[8:9]
	v_add_co_u32_e32 v8, vcc, v8, v15
	v_mul_hi_u32 v13, v5, v12
	s_nop 0
	v_addc_co_u32_e32 v8, vcc, v9, v14, vcc
	v_mul_lo_u32 v10, v5, v12
	s_nop 0
	v_addc_co_u32_e32 v11, vcc, 0, v13, vcc
	v_mov_b32_e32 v9, v4
	v_lshl_add_u64 v[8:9], v[8:9], 0, v[10:11]
	v_add_co_u32_e32 v1, vcc, v1, v8
	v_mul_hi_u32 v10, v6, v1
	s_nop 0
	v_addc_co_u32_e32 v5, vcc, v5, v9, vcc
	v_mad_u64_u32 v[8:9], s[2:3], v6, v5, 0
	v_mov_b32_e32 v11, v4
	v_lshl_add_u64 v[8:9], v[10:11], 0, v[8:9]
	v_mad_u64_u32 v[12:13], s[2:3], v7, v1, 0
	v_add_co_u32_e32 v1, vcc, v8, v12
	v_mad_u64_u32 v[10:11], s[2:3], v7, v5, 0
	s_nop 0
	v_addc_co_u32_e32 v8, vcc, v9, v13, vcc
	v_mov_b32_e32 v9, v4
	s_nop 0
	v_addc_co_u32_e32 v11, vcc, 0, v11, vcc
	v_lshl_add_u64 v[8:9], v[8:9], 0, v[10:11]
	v_mul_lo_u32 v1, s21, v8
	v_mul_lo_u32 v5, s20, v9
	v_mad_u64_u32 v[10:11], s[2:3], s20, v8, 0
	v_add3_u32 v1, v11, v5, v1
	v_sub_u32_e32 v5, v7, v1
	v_mov_b32_e32 v11, s21
	v_sub_co_u32_e32 v14, vcc, v6, v10
	v_lshl_add_u64 v[12:13], v[8:9], 0, 1
	s_nop 0
	v_subb_co_u32_e64 v5, s[2:3], v5, v11, vcc
	v_subrev_co_u32_e64 v10, s[2:3], s20, v14
	v_subb_co_u32_e32 v1, vcc, v7, v1, vcc
	s_nop 0
	v_subbrev_co_u32_e64 v5, s[2:3], 0, v5, s[2:3]
	v_cmp_le_u32_e64 s[2:3], s21, v5
	v_cmp_le_u32_e32 vcc, s21, v1
	s_nop 0
	v_cndmask_b32_e64 v11, 0, -1, s[2:3]
	v_cmp_le_u32_e64 s[2:3], s20, v10
	s_nop 1
	v_cndmask_b32_e64 v10, 0, -1, s[2:3]
	v_cmp_eq_u32_e64 s[2:3], s21, v5
	s_nop 1
	v_cndmask_b32_e64 v5, v11, v10, s[2:3]
	v_lshl_add_u64 v[10:11], v[8:9], 0, 2
	v_cmp_ne_u32_e64 s[2:3], 0, v5
	s_nop 1
	v_cndmask_b32_e64 v5, v13, v11, s[2:3]
	v_cndmask_b32_e64 v11, 0, -1, vcc
	v_cmp_le_u32_e32 vcc, s20, v14
	s_nop 1
	v_cndmask_b32_e64 v13, 0, -1, vcc
	v_cmp_eq_u32_e32 vcc, s21, v1
	s_nop 1
	v_cndmask_b32_e32 v1, v11, v13, vcc
	v_cmp_ne_u32_e32 vcc, 0, v1
	v_cndmask_b32_e64 v1, v12, v10, s[2:3]
	s_nop 0
	v_cndmask_b32_e32 v9, v9, v5, vcc
	v_cndmask_b32_e32 v8, v8, v1, vcc
.LBB0_4:                                ;   in Loop: Header=BB0_2 Depth=1
	s_andn2_saveexec_b64 s[2:3], s[22:23]
	s_cbranch_execz .LBB0_6
; %bb.5:                                ;   in Loop: Header=BB0_2 Depth=1
	v_cvt_f32_u32_e32 v1, s20
	s_sub_i32 s22, 0, s20
	v_rcp_iflag_f32_e32 v1, v1
	s_nop 0
	v_mul_f32_e32 v1, 0x4f7ffffe, v1
	v_cvt_u32_f32_e32 v1, v1
	v_mul_lo_u32 v5, s22, v1
	v_mul_hi_u32 v5, v1, v5
	v_add_u32_e32 v1, v1, v5
	v_mul_hi_u32 v1, v6, v1
	v_mul_lo_u32 v5, v1, s20
	v_sub_u32_e32 v5, v6, v5
	v_add_u32_e32 v8, 1, v1
	v_subrev_u32_e32 v9, s20, v5
	v_cmp_le_u32_e32 vcc, s20, v5
	s_nop 1
	v_cndmask_b32_e32 v5, v5, v9, vcc
	v_cndmask_b32_e32 v1, v1, v8, vcc
	v_add_u32_e32 v8, 1, v1
	v_cmp_le_u32_e32 vcc, s20, v5
	v_mov_b32_e32 v9, v4
	s_nop 0
	v_cndmask_b32_e32 v8, v1, v8, vcc
.LBB0_6:                                ;   in Loop: Header=BB0_2 Depth=1
	s_or_b64 exec, exec, s[2:3]
	v_mad_u64_u32 v[10:11], s[2:3], v8, s20, 0
	s_load_dwordx2 s[2:3], s[14:15], 0x0
	v_mul_lo_u32 v1, v9, s20
	v_mul_lo_u32 v5, v8, s21
	v_add3_u32 v1, v11, v5, v1
	v_sub_co_u32_e32 v5, vcc, v6, v10
	s_add_u32 s16, s16, 1
	s_nop 0
	v_subb_co_u32_e32 v1, vcc, v7, v1, vcc
	s_addc_u32 s17, s17, 0
	s_waitcnt lgkmcnt(0)
	v_mul_lo_u32 v1, s2, v1
	v_mul_lo_u32 v6, s3, v5
	v_mad_u64_u32 v[2:3], s[2:3], s2, v5, v[2:3]
	s_add_u32 s14, s14, 8
	v_add3_u32 v3, v6, v3, v1
	s_addc_u32 s15, s15, 0
	v_mov_b64_e32 v[6:7], s[6:7]
	s_add_u32 s18, s18, 8
	v_cmp_ge_u64_e32 vcc, s[16:17], v[6:7]
	s_addc_u32 s19, s19, 0
	s_cbranch_vccnz .LBB0_9
; %bb.7:                                ;   in Loop: Header=BB0_2 Depth=1
	v_mov_b64_e32 v[6:7], v[8:9]
	s_branch .LBB0_2
.LBB0_8:
	v_mov_b64_e32 v[8:9], v[6:7]
.LBB0_9:
	s_lshl_b64 s[2:3], s[6:7], 3
	s_add_u32 s2, s12, s2
	s_addc_u32 s3, s13, s3
	s_load_dwordx2 s[6:7], s[2:3], 0x0
	s_load_dwordx2 s[12:13], s[0:1], 0x20
	s_mov_b32 s2, 0x4ec4ec5
                                        ; implicit-def: $vgpr85
                                        ; implicit-def: $vgpr81
                                        ; implicit-def: $vgpr58
                                        ; implicit-def: $vgpr60
                                        ; implicit-def: $vgpr62
                                        ; implicit-def: $vgpr59
                                        ; implicit-def: $vgpr61
                                        ; implicit-def: $vgpr68
                                        ; implicit-def: $vgpr74
	s_waitcnt lgkmcnt(0)
	v_mul_lo_u32 v1, s6, v9
	v_mul_lo_u32 v4, s7, v8
	v_mad_u64_u32 v[2:3], s[0:1], s6, v8, v[2:3]
	v_add3_u32 v3, v4, v3, v1
	v_mul_hi_u32 v1, v0, s2
	v_mul_u32_u24_e32 v1, 52, v1
	v_sub_u32_e32 v78, v0, v1
	v_cmp_gt_u64_e32 vcc, s[12:13], v[8:9]
	v_cmp_le_u64_e64 s[0:1], s[12:13], v[8:9]
	v_add_u32_e32 v79, 52, v78
                                        ; implicit-def: $sgpr6
	s_and_saveexec_b64 s[2:3], s[0:1]
	s_xor_b64 s[0:1], exec, s[2:3]
; %bb.10:
	v_add_u32_e32 v85, 52, v78
	v_add_u32_e32 v81, 0x68, v78
	;; [unrolled: 1-line block ×9, first 2 shown]
	s_mov_b32 s6, 0
; %bb.11:
	s_or_saveexec_b64 s[2:3], s[0:1]
	v_mov_b32_e32 v30, s6
	v_lshl_add_u64 v[0:1], v[2:3], 3, s[10:11]
	v_mov_b32_e32 v31, s6
                                        ; implicit-def: $vgpr16
                                        ; implicit-def: $vgpr2
                                        ; implicit-def: $vgpr6
                                        ; implicit-def: $vgpr4
                                        ; implicit-def: $vgpr8
                                        ; implicit-def: $vgpr10
                                        ; implicit-def: $vgpr14
                                        ; implicit-def: $vgpr12
                                        ; implicit-def: $vgpr18
                                        ; implicit-def: $vgpr22
                                        ; implicit-def: $vgpr26
                                        ; implicit-def: $vgpr24
                                        ; implicit-def: $vgpr28
                                        ; implicit-def: $vgpr40
                                        ; implicit-def: $vgpr44
                                        ; implicit-def: $vgpr42
                                        ; implicit-def: $vgpr46
                                        ; implicit-def: $vgpr48
                                        ; implicit-def: $vgpr52
                                        ; implicit-def: $vgpr50
                                        ; implicit-def: $vgpr54
	s_xor_b64 exec, exec, s[2:3]
	s_cbranch_execz .LBB0_15
; %bb.12:
	v_mad_u64_u32 v[2:3], s[0:1], s8, v78, 0
	v_mov_b32_e32 v4, v3
	v_mad_u64_u32 v[4:5], s[0:1], s9, v78, v[4:5]
	v_mov_b32_e32 v3, v4
	v_add_u32_e32 v5, 0x222, v78
	v_lshl_add_u64 v[10:11], v[2:3], 3, v[0:1]
	v_mad_u64_u32 v[2:3], s[0:1], s8, v5, 0
	v_mov_b32_e32 v4, v3
	v_mad_u64_u32 v[4:5], s[0:1], s9, v5, v[4:5]
	v_mov_b32_e32 v3, v4
	v_lshl_add_u64 v[12:13], v[2:3], 3, v[0:1]
	v_mad_u64_u32 v[2:3], s[0:1], s8, v79, 0
	v_mov_b32_e32 v4, v3
	v_mad_u64_u32 v[4:5], s[0:1], s9, v79, v[4:5]
	v_mov_b32_e32 v3, v4
	v_add_u32_e32 v5, 0x256, v78
	v_lshl_add_u64 v[14:15], v[2:3], 3, v[0:1]
	v_mad_u64_u32 v[2:3], s[0:1], s8, v5, 0
	v_mov_b32_e32 v4, v3
	v_mad_u64_u32 v[4:5], s[0:1], s9, v5, v[4:5]
	v_mov_b32_e32 v3, v4
	v_add_u32_e32 v81, 0x68, v78
	v_lshl_add_u64 v[16:17], v[2:3], 3, v[0:1]
	global_load_dwordx2 v[2:3], v[10:11], off
	global_load_dwordx2 v[6:7], v[12:13], off
	;; [unrolled: 1-line block ×4, first 2 shown]
	v_mad_u64_u32 v[10:11], s[0:1], s8, v81, 0
	v_mov_b32_e32 v12, v11
	v_mad_u64_u32 v[12:13], s[0:1], s9, v81, v[12:13]
	v_mov_b32_e32 v11, v12
	v_add_u32_e32 v13, 0x28a, v78
	v_lshl_add_u64 v[16:17], v[10:11], 3, v[0:1]
	v_mad_u64_u32 v[10:11], s[0:1], s8, v13, 0
	v_mov_b32_e32 v12, v11
	v_mad_u64_u32 v[12:13], s[0:1], s9, v13, v[12:13]
	v_mov_b32_e32 v11, v12
	v_add_u32_e32 v58, 0x9c, v78
	v_lshl_add_u64 v[20:21], v[10:11], 3, v[0:1]
	;; [unrolled: 6-line block ×4, first 2 shown]
	global_load_dwordx2 v[10:11], v[16:17], off
	global_load_dwordx2 v[14:15], v[20:21], off
	;; [unrolled: 1-line block ×4, first 2 shown]
	v_mad_u64_u32 v[16:17], s[0:1], s8, v60, 0
	v_mov_b32_e32 v20, v17
	v_mad_u64_u32 v[20:21], s[0:1], s9, v60, v[20:21]
	v_add_u32_e32 v23, 0x2f2, v78
	v_mov_b32_e32 v17, v20
	v_mad_u64_u32 v[20:21], s[0:1], s8, v23, 0
	v_mov_b32_e32 v22, v21
	v_mad_u64_u32 v[22:23], s[0:1], s9, v23, v[22:23]
	v_add_u32_e32 v62, 0x104, v78
	v_mov_b32_e32 v21, v22
	v_mad_u64_u32 v[22:23], s[0:1], s8, v62, 0
	v_mov_b32_e32 v24, v23
	v_mad_u64_u32 v[24:25], s[0:1], s9, v62, v[24:25]
	v_mov_b32_e32 v23, v24
	v_add_u32_e32 v25, 0x326, v78
	v_lshl_add_u64 v[30:31], v[22:23], 3, v[0:1]
	v_mad_u64_u32 v[22:23], s[0:1], s8, v25, 0
	v_mov_b32_e32 v24, v23
	v_mad_u64_u32 v[24:25], s[0:1], s9, v25, v[24:25]
	v_lshl_add_u64 v[16:17], v[16:17], 3, v[0:1]
	v_mov_b32_e32 v23, v24
	v_add_u32_e32 v59, 0x138, v78
	v_lshl_add_u64 v[20:21], v[20:21], 3, v[0:1]
	v_lshl_add_u64 v[32:33], v[22:23], 3, v[0:1]
	global_load_dwordx2 v[22:23], v[16:17], off
	global_load_dwordx2 v[26:27], v[20:21], off
	;; [unrolled: 1-line block ×4, first 2 shown]
	v_mad_u64_u32 v[16:17], s[0:1], s8, v59, 0
	v_mov_b32_e32 v20, v17
	v_mad_u64_u32 v[20:21], s[0:1], s9, v59, v[20:21]
	v_add_u32_e32 v31, 0x35a, v78
	v_mov_b32_e32 v17, v20
	v_mad_u64_u32 v[20:21], s[0:1], s8, v31, 0
	v_mov_b32_e32 v30, v21
	v_mad_u64_u32 v[30:31], s[0:1], s9, v31, v[30:31]
	v_add_u32_e32 v61, 0x16c, v78
	v_mov_b32_e32 v21, v30
	v_mad_u64_u32 v[30:31], s[0:1], s8, v61, 0
	v_mov_b32_e32 v32, v31
	v_mad_u64_u32 v[32:33], s[0:1], s9, v61, v[32:33]
	v_add_u32_e32 v35, 0x38e, v78
	v_mov_b32_e32 v31, v32
	v_mad_u64_u32 v[32:33], s[0:1], s8, v35, 0
	v_mov_b32_e32 v34, v33
	v_mad_u64_u32 v[34:35], s[0:1], s9, v35, v[34:35]
	v_lshl_add_u64 v[16:17], v[16:17], 3, v[0:1]
	v_mov_b32_e32 v33, v34
	v_add_u32_e32 v68, 0x1a0, v78
	v_lshl_add_u64 v[20:21], v[20:21], 3, v[0:1]
	v_lshl_add_u64 v[30:31], v[30:31], 3, v[0:1]
	;; [unrolled: 1-line block ×3, first 2 shown]
	global_load_dwordx2 v[40:41], v[16:17], off
	global_load_dwordx2 v[44:45], v[20:21], off
	;; [unrolled: 1-line block ×4, first 2 shown]
	v_mad_u64_u32 v[16:17], s[0:1], s8, v68, 0
	v_mov_b32_e32 v20, v17
	v_mad_u64_u32 v[20:21], s[0:1], s9, v68, v[20:21]
	v_add_u32_e32 v31, 0x3c2, v78
	v_mov_b32_e32 v17, v20
	v_mad_u64_u32 v[20:21], s[0:1], s8, v31, 0
	v_mov_b32_e32 v30, v21
	v_mad_u64_u32 v[30:31], s[0:1], s9, v31, v[30:31]
	v_add_u32_e32 v74, 0x1d4, v78
	v_mov_b32_e32 v21, v30
	;; [unrolled: 5-line block ×3, first 2 shown]
	v_mad_u64_u32 v[32:33], s[0:1], s8, v35, 0
	v_mov_b32_e32 v34, v33
	v_mad_u64_u32 v[34:35], s[0:1], s9, v35, v[34:35]
	v_lshl_add_u64 v[16:17], v[16:17], 3, v[0:1]
	v_mov_b32_e32 v33, v34
	v_lshl_add_u64 v[20:21], v[20:21], 3, v[0:1]
	v_lshl_add_u64 v[30:31], v[30:31], 3, v[0:1]
	;; [unrolled: 1-line block ×3, first 2 shown]
	global_load_dwordx2 v[48:49], v[16:17], off
	global_load_dwordx2 v[52:53], v[20:21], off
	;; [unrolled: 1-line block ×4, first 2 shown]
	v_cmp_gt_u32_e64 s[0:1], 26, v78
	v_mov_b32_e32 v31, 0
	v_mov_b32_e32 v30, 0
                                        ; implicit-def: $vgpr17
	s_and_saveexec_b64 s[6:7], s[0:1]
	s_cbranch_execz .LBB0_14
; %bb.13:
	v_add_u32_e32 v21, 0x208, v78
	v_mad_u64_u32 v[16:17], s[0:1], s8, v21, 0
	v_mov_b32_e32 v20, v17
	v_mad_u64_u32 v[20:21], s[0:1], s9, v21, v[20:21]
	v_mov_b32_e32 v17, v20
	v_add_u32_e32 v31, 0x42a, v78
	v_lshl_add_u64 v[20:21], v[16:17], 3, v[0:1]
	v_mad_u64_u32 v[16:17], s[0:1], s8, v31, 0
	v_mov_b32_e32 v30, v17
	v_mad_u64_u32 v[30:31], s[0:1], s9, v31, v[30:31]
	v_mov_b32_e32 v17, v30
	v_lshl_add_u64 v[32:33], v[16:17], 3, v[0:1]
	global_load_dwordx2 v[30:31], v[20:21], off
	global_load_dwordx2 v[16:17], v[32:33], off
.LBB0_14:
	s_or_b64 exec, exec, s[6:7]
	v_mov_b32_e32 v85, v79
.LBB0_15:
	s_or_b64 exec, exec, s[2:3]
	s_waitcnt vmcnt(18)
	v_sub_f32_e32 v21, v2, v6
	v_fma_f32 v20, v2, 2.0, -v21
	v_lshl_add_u32 v2, v78, 3, 0
	s_waitcnt vmcnt(16)
	v_sub_f32_e32 v33, v4, v8
	ds_write_b64 v2, v[20:21]
	s_waitcnt vmcnt(14)
	v_sub_f32_e32 v21, v10, v14
	v_fma_f32 v32, v4, 2.0, -v33
	v_fma_f32 v20, v10, 2.0, -v21
	v_lshl_add_u32 v4, v85, 3, 0
	v_lshl_add_u32 v63, v81, 3, 0
	ds_write_b64 v4, v[32:33]
	ds_write_b64 v63, v[20:21]
	s_waitcnt vmcnt(12)
	v_sub_f32_e32 v21, v12, v18
	v_fma_f32 v20, v12, 2.0, -v21
	v_lshl_add_u32 v12, v58, 3, 0
	ds_write_b64 v12, v[20:21]
	s_waitcnt vmcnt(10)
	v_sub_f32_e32 v21, v22, v26
	v_fma_f32 v20, v22, 2.0, -v21
	v_lshl_add_u32 v64, v60, 3, 0
	;; [unrolled: 5-line block ×6, first 2 shown]
	ds_write_b64 v42, v[20:21]
	s_waitcnt vmcnt(0)
	v_sub_f32_e32 v21, v50, v54
	v_pk_add_f32 v[16:17], v[30:31], v[16:17] neg_lo:[0,1] neg_hi:[0,1]
	v_add_u32_e32 v80, 0x208, v78
	v_fma_f32 v20, v50, 2.0, -v21
	v_lshl_add_u32 v50, v74, 3, 0
	v_cmp_lt_u32_e64 s[2:3], 25, v78
	v_cmp_gt_u32_e64 s[0:1], 26, v78
	v_lshl_add_u32 v6, v80, 3, 0
	v_fma_f32 v56, v30, 2.0, -v16
	ds_write_b64 v50, v[20:21]
	s_and_saveexec_b64 s[6:7], s[0:1]
	s_cbranch_execz .LBB0_17
; %bb.16:
	v_mov_b32_e32 v57, v16
	ds_write_b64 v6, v[56:57]
.LBB0_17:
	s_or_b64 exec, exec, s[6:7]
	v_lshl_add_u32 v82, v78, 2, 0
	v_add_u32_e32 v10, 0x800, v82
	v_lshlrev_b32_e32 v8, 2, v81
	s_waitcnt lgkmcnt(0)
	; wave barrier
	s_waitcnt lgkmcnt(0)
	ds_read2_b32 v[20:21], v10 offset0:34 offset1:86
	v_sub_u32_e32 v18, v63, v8
	ds_read2_b32 v[32:33], v10 offset0:138 offset1:190
	v_lshlrev_b32_e32 v10, 2, v58
	v_lshlrev_b32_e32 v14, 2, v60
	v_add_u32_e32 v24, 0xa00, v82
	v_lshlrev_b32_e32 v46, 2, v62
	v_lshlrev_b32_e32 v52, 2, v59
	v_add_u32_e32 v65, 0xc00, v82
	v_lshlrev_b32_e32 v57, 2, v61
	v_lshl_add_u32 v83, v85, 2, 0
	v_sub_u32_e32 v22, v12, v10
	v_sub_u32_e32 v38, v64, v14
	ds_read2_b32 v[34:35], v24 offset0:114 offset1:166
	v_sub_u32_e32 v39, v28, v46
	v_sub_u32_e32 v54, v66, v52
	ds_read2_b32 v[36:37], v65 offset0:90 offset1:142
	v_sub_u32_e32 v67, v72, v57
	ds_read_b32 v24, v82
	ds_read_b32 v26, v83
	ds_read_b32 v30, v18
	ds_read_b32 v40, v22
	ds_read_b32 v44, v38
	ds_read_b32 v48, v39
	ds_read_b32 v69, v54
	ds_read_b32 v18, v67
	v_lshlrev_b32_e32 v70, 2, v68
	v_sub_u32_e32 v22, v42, v70
	v_lshlrev_b32_e32 v71, 2, v74
	ds_read2_b32 v[38:39], v65 offset0:194 offset1:246
	v_sub_u32_e32 v54, v50, v71
	ds_read_b32 v22, v22
	ds_read_b32 v75, v54
	s_and_saveexec_b64 s[6:7], s[0:1]
	s_cbranch_execz .LBB0_19
; %bb.18:
	ds_read_b32 v56, v82 offset:2080
	ds_read_b32 v16, v82 offset:4264
.LBB0_19:
	s_or_b64 exec, exec, s[6:7]
	v_sub_u32_e32 v54, 0, v52
	v_sub_u32_e32 v52, 0, v57
	;; [unrolled: 1-line block ×3, first 2 shown]
	v_sub_f32_e32 v71, v3, v7
	v_sub_f32_e32 v15, v11, v15
	v_sub_u32_e32 v77, 0, v8
	v_sub_u32_e32 v76, 0, v10
	;; [unrolled: 1-line block ×5, first 2 shown]
	v_fma_f32 v70, v3, 2.0, -v71
	v_sub_f32_e32 v9, v5, v9
	v_fma_f32 v14, v11, 2.0, -v15
	v_sub_f32_e32 v11, v13, v19
	v_sub_f32_e32 v87, v23, v27
	;; [unrolled: 1-line block ×7, first 2 shown]
	v_fma_f32 v46, v31, 2.0, -v17
	v_fma_f32 v8, v5, 2.0, -v9
	;; [unrolled: 1-line block ×9, first 2 shown]
	s_waitcnt lgkmcnt(0)
	; wave barrier
	s_waitcnt lgkmcnt(0)
	ds_write_b64 v2, v[70:71]
	ds_write_b64 v4, v[8:9]
	;; [unrolled: 1-line block ×10, first 2 shown]
	s_and_saveexec_b64 s[6:7], s[0:1]
	s_cbranch_execz .LBB0_21
; %bb.20:
	v_mov_b32_e32 v47, v17
	ds_write_b64 v6, v[46:47]
.LBB0_21:
	s_or_b64 exec, exec, s[6:7]
	v_add_u32_e32 v5, 0x800, v82
	v_lshlrev_b32_e32 v8, 1, v62
	s_waitcnt lgkmcnt(0)
	; wave barrier
	s_waitcnt lgkmcnt(0)
	ds_read2_b32 v[70:71], v5 offset0:34 offset1:86
	v_add_u32_e32 v3, v63, v77
	ds_read2_b32 v[62:63], v5 offset0:138 offset1:190
	v_add_u32_e32 v5, v12, v76
	v_add_u32_e32 v9, 0xa00, v82
	;; [unrolled: 1-line block ×4, first 2 shown]
	ds_read2_b32 v[64:65], v9 offset0:114 offset1:166
	v_add_u32_e32 v9, v28, v67
	v_add_u32_e32 v84, v66, v54
	ds_read2_b32 v[66:67], v12 offset0:90 offset1:142
	v_add_u32_e32 v11, v72, v52
	ds_read_b32 v88, v82
	ds_read_b32 v87, v83
	;; [unrolled: 1-line block ×8, first 2 shown]
	v_add_u32_e32 v15, v42, v73
	v_lshlrev_b32_e32 v4, 1, v58
	v_lshlrev_b32_e32 v6, 1, v60
	ds_read2_b32 v[72:73], v12 offset0:194 offset1:246
	v_add_u32_e32 v13, v50, v57
	ds_read_b32 v58, v15
	ds_read_b32 v60, v13
	v_lshlrev_b32_e32 v14, 1, v78
	v_lshlrev_b32_e32 v10, 1, v85
	;; [unrolled: 1-line block ×7, first 2 shown]
	s_and_saveexec_b64 s[6:7], s[0:1]
	s_cbranch_execz .LBB0_23
; %bb.22:
	ds_read_b32 v46, v82 offset:2080
	ds_read_b32 v17, v82 offset:4264
.LBB0_23:
	s_or_b64 exec, exec, s[6:7]
	v_and_b32_e32 v15, 1, v78
	v_lshlrev_b32_e32 v23, 3, v15
	global_load_dwordx2 v[76:77], v23, s[4:5]
	s_movk_i32 s6, 0x7c
	s_movk_i32 s11, 0x3fc
	;; [unrolled: 1-line block ×5, first 2 shown]
	v_and_or_b32 v28, v14, s6, v15
	v_and_or_b32 v42, v6, s11, v15
	;; [unrolled: 1-line block ×3, first 2 shown]
	s_movk_i32 s13, 0x7fc
	v_and_or_b32 v29, v10, s7, v15
	v_and_or_b32 v41, v4, s10, v15
	;; [unrolled: 1-line block ×5, first 2 shown]
	v_lshl_add_u32 v92, v28, 2, 0
	v_lshl_add_u32 v96, v42, 2, 0
	;; [unrolled: 1-line block ×3, first 2 shown]
	v_and_or_b32 v31, v2, s10, v15
	v_and_or_b32 v27, v27, s13, v15
	v_lshl_add_u32 v93, v29, 2, 0
	v_lshl_add_u32 v95, v41, 2, 0
	;; [unrolled: 1-line block ×5, first 2 shown]
	v_add_f32_e32 v23, v75, v75
	v_lshl_add_u32 v94, v31, 2, 0
	v_lshl_add_u32 v89, v27, 2, 0
	v_add_f32_e32 v68, v18, v18
	v_lshlrev_b32_e32 v99, 1, v80
	s_waitcnt lgkmcnt(0)
	; wave barrier
	s_waitcnt vmcnt(0) lgkmcnt(0)
	v_mul_f32_e32 v42, v64, v77
	v_mul_f32_e32 v28, v67, v77
	;; [unrolled: 1-line block ×11, first 2 shown]
	v_fma_f32 v28, v37, v76, -v28
	v_fma_f32 v51, v39, v76, -v45
	;; [unrolled: 1-line block ×3, first 2 shown]
	v_mul_f32_e32 v27, v71, v77
	v_mul_f32_e32 v31, v62, v77
	v_fma_f32 v25, v20, v76, -v25
	v_fma_f32 v41, v33, v76, -v41
	;; [unrolled: 1-line block ×4, first 2 shown]
	v_pk_add_f32 v[42:43], v[18:19], v[28:29] neg_lo:[0,1] neg_hi:[0,1]
	v_sub_f32_e32 v61, v44, v45
	v_pk_add_f32 v[28:29], v[74:75], v[50:51] neg_lo:[0,1] neg_hi:[0,1]
	v_fma_f32 v27, v21, v76, -v27
	v_fma_f32 v31, v32, v76, -v31
	v_sub_f32_e32 v59, v24, v25
	v_sub_f32_e32 v41, v40, v41
	;; [unrolled: 1-line block ×3, first 2 shown]
	v_fma_f32 v51, v44, 2.0, -v61
	v_pk_add_f32 v[44:45], v[22:23], v[28:29] neg_lo:[0,1] neg_hi:[0,1]
	v_sub_f32_e32 v27, v26, v27
	v_sub_f32_e32 v31, v30, v31
	;; [unrolled: 1-line block ×3, first 2 shown]
	v_fma_f32 v49, v24, 2.0, -v59
	v_fma_f32 v50, v40, 2.0, -v41
	;; [unrolled: 1-line block ×3, first 2 shown]
	v_pk_add_f32 v[18:19], v[68:69], v[42:43] neg_lo:[0,1] neg_hi:[0,1]
	v_fma_f32 v40, v22, 2.0, -v44
	v_fma_f32 v26, v26, 2.0, -v27
	;; [unrolled: 1-line block ×5, first 2 shown]
	ds_write2_b32 v92, v49, v59 offset1:2
	ds_write2_b32 v93, v26, v27 offset1:2
	;; [unrolled: 1-line block ×10, first 2 shown]
	s_and_saveexec_b64 s[6:7], s[0:1]
	s_cbranch_execz .LBB0_25
; %bb.24:
	s_movk_i32 s0, 0x47c
	v_and_or_b32 v22, v99, s0, v15
	v_lshl_add_u32 v22, v22, 2, 0
	ds_write2_b32 v22, v24, v25 offset1:2
.LBB0_25:
	s_or_b64 exec, exec, s[6:7]
	v_add_u32_e32 v41, 0x400, v82
	v_add_u32_e32 v28, 0x600, v82
	;; [unrolled: 1-line block ×4, first 2 shown]
	s_waitcnt lgkmcnt(0)
	; wave barrier
	s_waitcnt lgkmcnt(0)
	ds_read2_b32 v[22:23], v82 offset1:84
	ds_read2_b32 v[74:75], v82 offset0:168 offset1:252
	ds_read2_b32 v[68:69], v41 offset0:80 offset1:164
	;; [unrolled: 1-line block ×5, first 2 shown]
	ds_read_b32 v43, v82 offset:4032
	v_cmp_gt_u32_e64 s[0:1], 32, v78
                                        ; implicit-def: $vgpr27
                                        ; implicit-def: $vgpr31
	s_and_saveexec_b64 s[6:7], s[0:1]
	s_cbranch_execz .LBB0_27
; %bb.26:
	ds_read_b32 v44, v83
	ds_read2_b32 v[18:19], v82 offset0:136 offset1:220
	ds_read2_b32 v[40:41], v41 offset0:48 offset1:132
	;; [unrolled: 1-line block ×5, first 2 shown]
	v_add_u32_e32 v26, 0xe00, v82
	ds_read2_b32 v[26:27], v26 offset0:80 offset1:164
	s_waitcnt lgkmcnt(5)
	v_mov_b32_e32 v42, v19
	v_mov_b32_e32 v19, v44
	s_waitcnt lgkmcnt(4)
	v_mov_b32_e32 v44, v41
	s_waitcnt lgkmcnt(3)
	v_mov_b32_e32 v45, v28
.LBB0_27:
	s_or_b64 exec, exec, s[6:7]
	v_mul_f32_e32 v33, v33, v77
	v_mul_f32_e32 v16, v16, v77
	;; [unrolled: 1-line block ×4, first 2 shown]
	v_fmac_f32_e32 v33, v63, v76
	v_mul_f32_e32 v34, v34, v77
	v_mul_f32_e32 v35, v35, v77
	;; [unrolled: 1-line block ×4, first 2 shown]
	v_fmac_f32_e32 v16, v17, v76
	v_mul_f32_e32 v20, v20, v77
	v_fmac_f32_e32 v34, v64, v76
	v_fmac_f32_e32 v35, v65, v76
	;; [unrolled: 1-line block ×3, first 2 shown]
	v_mul_f32_e32 v36, v38, v77
	v_fmac_f32_e32 v32, v73, v76
	v_sub_f32_e32 v66, v55, v33
	v_sub_f32_e32 v33, v46, v16
	v_add_f32_e32 v61, v46, v46
	v_fmac_f32_e32 v20, v70, v76
	v_fmac_f32_e32 v36, v72, v76
	v_sub_f32_e32 v70, v52, v34
	v_sub_f32_e32 v72, v47, v35
	v_pk_add_f32 v[34:35], v[60:61], v[32:33] neg_lo:[0,1] neg_hi:[0,1]
	v_fmac_f32_e32 v41, v62, v76
	v_mul_f32_e32 v62, v37, v77
	v_add_f32_e32 v59, v60, v60
	v_mov_b32_e32 v37, v34
	v_pk_add_f32 v[36:37], v[58:59], v[36:37] neg_lo:[0,1] neg_hi:[0,1]
	v_fmac_f32_e32 v62, v67, v76
	v_fma_f32 v67, v55, 2.0, -v66
	v_add_f32_e32 v55, v58, v58
	v_mov_b32_e32 v63, v36
	v_fmac_f32_e32 v28, v71, v76
	v_fma_f32 v71, v52, 2.0, -v70
	v_add_f32_e32 v52, v54, v54
	v_pk_add_f32 v[54:55], v[54:55], v[62:63] neg_lo:[0,1] neg_hi:[0,1]
	v_sub_f32_e32 v38, v88, v20
	v_mov_b32_e32 v20, v54
	v_fma_f32 v39, v88, 2.0, -v38
	v_sub_f32_e32 v28, v87, v28
	v_sub_f32_e32 v41, v86, v41
	v_pk_add_f32 v[16:17], v[52:53], v[20:21] neg_lo:[0,1] neg_hi:[0,1]
	v_fma_f32 v64, v87, 2.0, -v28
	v_fma_f32 v65, v86, 2.0, -v41
	;; [unrolled: 1-line block ×4, first 2 shown]
	s_waitcnt lgkmcnt(0)
	; wave barrier
	s_waitcnt lgkmcnt(0)
	ds_write2_b32 v92, v39, v38 offset1:2
	ds_write2_b32 v93, v64, v28 offset1:2
	;; [unrolled: 1-line block ×10, first 2 shown]
	s_and_saveexec_b64 s[6:7], s[2:3]
	s_xor_b64 s[2:3], exec, s[6:7]
; %bb.28:
                                        ; implicit-def: $vgpr99
                                        ; implicit-def: $vgpr15
; %bb.29:
	s_andn2_saveexec_b64 s[2:3], s[2:3]
	s_cbranch_execz .LBB0_31
; %bb.30:
	s_movk_i32 s6, 0x47c
	v_and_or_b32 v15, v99, s6, v15
	v_lshl_add_u32 v15, v15, 2, 0
	ds_write2_b32 v15, v35, v33 offset1:2
.LBB0_31:
	s_or_b64 exec, exec, s[2:3]
	v_add_u32_e32 v38, 0x400, v82
	v_add_u32_e32 v32, 0x600, v82
	;; [unrolled: 1-line block ×4, first 2 shown]
	s_waitcnt lgkmcnt(0)
	; wave barrier
	s_waitcnt lgkmcnt(0)
	ds_read2_b32 v[20:21], v82 offset1:84
	ds_read2_b32 v[64:65], v82 offset0:168 offset1:252
	ds_read2_b32 v[62:63], v38 offset0:80 offset1:164
	ds_read2_b32 v[60:61], v32 offset0:120 offset1:204
	ds_read2_b32 v[58:59], v28 offset0:160 offset1:244
	ds_read2_b32 v[52:53], v15 offset0:72 offset1:156
	ds_read_b32 v41, v82 offset:4032
                                        ; implicit-def: $vgpr39
                                        ; implicit-def: $vgpr47
	s_and_saveexec_b64 s[2:3], s[0:1]
	s_cbranch_execz .LBB0_33
; %bb.32:
	ds_read_b32 v17, v83
	ds_read2_b32 v[66:67], v82 offset0:136 offset1:220
	ds_read2_b32 v[54:55], v38 offset0:48 offset1:132
	;; [unrolled: 1-line block ×5, first 2 shown]
	v_add_u32_e32 v15, 0xe00, v82
	ds_read2_b32 v[38:39], v15 offset0:80 offset1:164
	s_waitcnt lgkmcnt(3)
	v_mov_b32_e32 v34, v37
	v_mov_b32_e32 v37, v36
	;; [unrolled: 1-line block ×6, first 2 shown]
	s_waitcnt lgkmcnt(2)
	v_mov_b32_e32 v35, v32
.LBB0_33:
	s_or_b64 exec, exec, s[2:3]
	v_and_b32_e32 v15, 3, v78
	v_mul_u32_u24_e32 v28, 12, v15
	v_lshlrev_b32_e32 v77, 3, v28
	global_load_dwordx4 v[88:91], v77, s[4:5] offset:64
	global_load_dwordx4 v[92:95], v77, s[4:5] offset:48
	;; [unrolled: 1-line block ×6, first 2 shown]
	s_mov_b32 s10, 0x3f62ad3f
	s_mov_b32 s7, 0x3f116cb1
	;; [unrolled: 1-line block ×6, first 2 shown]
	s_waitcnt lgkmcnt(0)
	; wave barrier
	s_waitcnt vmcnt(5) lgkmcnt(0)
	v_mul_f32_e32 v32, v57, v89
	v_fmac_f32_e32 v32, v61, v88
	s_waitcnt vmcnt(3)
	v_mul_f32_e32 v70, v75, v97
	s_waitcnt vmcnt(2)
	v_mul_f32_e32 v76, v23, v101
	v_mul_f32_e32 v28, v21, v101
	v_fmac_f32_e32 v76, v21, v100
	v_mul_f32_e32 v21, v64, v103
	v_fma_f32 v71, v74, v102, -v21
	v_mul_f32_e32 v21, v65, v97
	v_fma_f32 v67, v75, v96, -v21
	v_mul_f32_e32 v21, v62, v99
	v_fmac_f32_e32 v70, v65, v96
	v_fma_f32 v65, v68, v98, -v21
	v_mul_f32_e32 v66, v68, v99
	v_mul_f32_e32 v21, v63, v93
	v_fmac_f32_e32 v66, v62, v98
	v_fma_f32 v62, v69, v92, -v21
	v_mul_f32_e32 v21, v60, v95
	v_fma_f32 v73, v23, v100, -v28
	v_fma_f32 v21, v56, v94, -v21
	v_mul_f32_e32 v23, v56, v95
	v_mul_f32_e32 v28, v61, v89
	;; [unrolled: 1-line block ×3, first 2 shown]
	v_fmac_f32_e32 v23, v60, v94
	v_fma_f32 v28, v57, v88, -v28
	v_fma_f32 v57, v50, v90, -v56
	v_mul_f32_e32 v60, v50, v91
	s_waitcnt vmcnt(0)
	v_mul_f32_e32 v50, v59, v109
	v_mul_f32_e32 v72, v74, v103
	v_fma_f32 v61, v51, v108, -v50
	v_mul_f32_e32 v50, v52, v111
	v_fmac_f32_e32 v72, v64, v102
	v_mul_f32_e32 v64, v69, v93
	v_fma_f32 v68, v48, v110, -v50
	v_mul_f32_e32 v69, v48, v111
	v_mul_f32_e32 v48, v53, v105
	;; [unrolled: 1-line block ×4, first 2 shown]
	v_fma_f32 v75, v49, v104, -v48
	v_mul_f32_e32 v48, v41, v107
	v_fmac_f32_e32 v87, v41, v106
	v_mul_f32_e32 v41, v16, v101
	v_fmac_f32_e32 v56, v16, v100
	v_mul_f32_e32 v16, v54, v103
	v_fma_f32 v50, v42, v102, -v16
	v_mul_f32_e32 v16, v55, v97
	v_mul_f32_e32 v77, v49, v105
	v_fma_f32 v86, v43, v106, -v48
	v_fma_f32 v48, v40, v96, -v16
	v_mul_f32_e32 v16, v36, v99
	v_mul_f32_e32 v43, v44, v99
	v_fmac_f32_e32 v64, v63, v92
	v_mul_f32_e32 v63, v51, v109
	v_fmac_f32_e32 v77, v53, v104
	v_fma_f32 v53, v18, v100, -v41
	v_mul_f32_e32 v51, v42, v103
	v_fma_f32 v42, v44, v98, -v16
	v_fmac_f32_e32 v43, v36, v98
	v_mul_f32_e32 v16, v37, v93
	v_mul_f32_e32 v41, v45, v93
	;; [unrolled: 1-line block ×5, first 2 shown]
	v_fma_f32 v40, v45, v92, -v16
	v_fmac_f32_e32 v41, v37, v92
	v_mul_f32_e32 v16, v34, v95
	v_fmac_f32_e32 v36, v34, v94
	v_fma_f32 v34, v24, v88, -v18
	v_mul_f32_e32 v37, v24, v89
	v_mul_f32_e32 v18, v33, v91
	v_fmac_f32_e32 v37, v35, v88
	v_fma_f32 v35, v25, v90, -v18
	v_mul_f32_e32 v18, v46, v109
	v_fmac_f32_e32 v69, v52, v110
	v_fma_f32 v45, v30, v108, -v18
	v_mul_f32_e32 v52, v30, v109
	v_mul_f32_e32 v18, v47, v111
	v_fmac_f32_e32 v51, v54, v102
	v_fmac_f32_e32 v49, v55, v96
	v_mul_f32_e32 v44, v25, v91
	v_fmac_f32_e32 v52, v46, v108
	v_fma_f32 v46, v31, v110, -v18
	v_mul_f32_e32 v54, v31, v111
	v_mul_f32_e32 v18, v38, v105
	;; [unrolled: 1-line block ×3, first 2 shown]
	v_sub_f32_e32 v25, v76, v87
	v_fmac_f32_e32 v63, v59, v108
	v_fma_f32 v16, v29, v94, -v16
	v_fmac_f32_e32 v54, v47, v110
	v_fma_f32 v47, v26, v104, -v18
	v_fmac_f32_e32 v55, v38, v104
	v_mul_f32_e32 v18, v39, v107
	v_mul_f32_e32 v59, v27, v107
	v_add_f32_e32 v24, v73, v86
	v_mul_f32_e32 v26, 0xbeedf032, v25
	v_mul_f32_e32 v29, 0xbf52af12, v25
	v_mul_f32_e32 v31, 0xbf7e222b, v25
	v_mul_f32_e32 v38, 0xbf6f5d39, v25
	v_mul_f32_e32 v74, 0xbf29c268, v25
	v_mul_f32_e32 v25, 0xbe750f2a, v25
	v_fmac_f32_e32 v60, v58, v90
	v_fmac_f32_e32 v44, v33, v90
	v_fma_f32 v58, v27, v106, -v18
	v_fmac_f32_e32 v59, v39, v106
	v_fma_f32 v27, v24, s10, -v26
	;; [unrolled: 2-line block ×7, first 2 shown]
	v_fmac_f32_e32 v25, 0xbf788fa5, v24
	v_add_f32_e32 v18, v22, v73
	v_add_f32_e32 v27, v22, v27
	v_add_f32_e32 v26, v22, v26
	v_add_f32_e32 v30, v22, v30
	v_add_f32_e32 v29, v22, v29
	v_add_f32_e32 v33, v22, v33
	v_add_f32_e32 v31, v22, v31
	v_add_f32_e32 v39, v22, v39
	v_add_f32_e32 v38, v22, v38
	v_add_f32_e32 v88, v22, v88
	v_add_f32_e32 v74, v22, v74
	v_add_f32_e32 v89, v22, v89
	v_add_f32_e32 v22, v22, v25
	v_sub_f32_e32 v25, v72, v77
	v_add_f32_e32 v24, v71, v75
	v_mul_f32_e32 v90, 0xbf52af12, v25
	v_fma_f32 v91, v24, s7, -v90
	v_fmac_f32_e32 v90, 0x3f116cb1, v24
	v_add_f32_e32 v26, v90, v26
	v_mul_f32_e32 v90, 0xbf6f5d39, v25
	v_add_f32_e32 v27, v91, v27
	v_fma_f32 v91, v24, s11, -v90
	v_fmac_f32_e32 v90, 0xbeb58ec6, v24
	v_add_f32_e32 v29, v90, v29
	v_mul_f32_e32 v90, 0xbe750f2a, v25
	v_add_f32_e32 v30, v91, v30
	v_fma_f32 v91, v24, s13, -v90
	v_fmac_f32_e32 v90, 0xbf788fa5, v24
	v_add_f32_e32 v31, v90, v31
	v_mul_f32_e32 v90, 0x3f29c268, v25
	v_add_f32_e32 v33, v91, v33
	v_fma_f32 v91, v24, s12, -v90
	v_fmac_f32_e32 v90, 0xbf3f9e67, v24
	v_add_f32_e32 v38, v90, v38
	v_mul_f32_e32 v90, 0x3f7e222b, v25
	v_add_f32_e32 v39, v91, v39
	v_fma_f32 v91, v24, s6, -v90
	v_fmac_f32_e32 v90, 0x3df6dbef, v24
	v_mul_f32_e32 v25, 0x3eedf032, v25
	v_add_f32_e32 v74, v90, v74
	v_fma_f32 v90, v24, s10, -v25
	v_fmac_f32_e32 v25, 0x3f62ad3f, v24
	v_add_f32_e32 v22, v25, v22
	v_sub_f32_e32 v25, v70, v69
	v_add_f32_e32 v89, v90, v89
	v_add_f32_e32 v24, v67, v68
	v_mul_f32_e32 v90, 0xbf7e222b, v25
	v_add_f32_e32 v88, v91, v88
	v_fma_f32 v91, v24, s6, -v90
	v_fmac_f32_e32 v90, 0x3df6dbef, v24
	v_add_f32_e32 v26, v90, v26
	v_mul_f32_e32 v90, 0xbe750f2a, v25
	v_add_f32_e32 v27, v91, v27
	v_fma_f32 v91, v24, s13, -v90
	v_fmac_f32_e32 v90, 0xbf788fa5, v24
	v_add_f32_e32 v29, v90, v29
	v_mul_f32_e32 v90, 0x3f6f5d39, v25
	v_add_f32_e32 v30, v91, v30
	v_fma_f32 v91, v24, s11, -v90
	v_fmac_f32_e32 v90, 0xbeb58ec6, v24
	v_add_f32_e32 v31, v90, v31
	v_mul_f32_e32 v90, 0x3eedf032, v25
	v_add_f32_e32 v33, v91, v33
	v_fma_f32 v91, v24, s10, -v90
	v_fmac_f32_e32 v90, 0x3f62ad3f, v24
	v_add_f32_e32 v38, v90, v38
	v_mul_f32_e32 v90, 0xbf52af12, v25
	v_add_f32_e32 v39, v91, v39
	v_fma_f32 v91, v24, s7, -v90
	v_fmac_f32_e32 v90, 0x3f116cb1, v24
	v_mul_f32_e32 v25, 0xbf29c268, v25
	v_add_f32_e32 v74, v90, v74
	v_fma_f32 v90, v24, s12, -v25
	v_fmac_f32_e32 v25, 0xbf3f9e67, v24
	v_add_f32_e32 v22, v25, v22
	v_sub_f32_e32 v25, v66, v63
	v_add_f32_e32 v89, v90, v89
	v_add_f32_e32 v24, v65, v61
	v_mul_f32_e32 v90, 0xbf6f5d39, v25
	v_add_f32_e32 v88, v91, v88
	;; [unrolled: 32-line block ×4, first 2 shown]
	v_fma_f32 v91, v24, s13, -v90
	v_fmac_f32_e32 v90, 0xbf788fa5, v24
	v_add_f32_e32 v26, v90, v26
	v_mul_f32_e32 v90, 0x3eedf032, v25
	v_add_f32_e32 v18, v18, v71
	v_add_f32_e32 v27, v91, v27
	v_fma_f32 v91, v24, s10, -v90
	v_fmac_f32_e32 v90, 0x3f62ad3f, v24
	v_add_f32_e32 v18, v18, v67
	v_add_f32_e32 v29, v90, v29
	v_mul_f32_e32 v90, 0xbf29c268, v25
	v_add_f32_e32 v18, v18, v65
	v_add_f32_e32 v30, v91, v30
	v_fma_f32 v91, v24, s12, -v90
	v_fmac_f32_e32 v90, 0xbf3f9e67, v24
	v_add_f32_e32 v18, v18, v62
	;; [unrolled: 7-line block ×3, first 2 shown]
	v_add_f32_e32 v38, v90, v38
	v_mul_f32_e32 v90, 0xbf6f5d39, v25
	v_add_f32_e32 v18, v18, v57
	v_add_f32_e32 v39, v91, v39
	v_fma_f32 v91, v24, s11, -v90
	v_mul_f32_e32 v25, 0x3f7e222b, v25
	v_add_f32_e32 v18, v18, v61
	v_add_f32_e32 v91, v91, v88
	v_fmac_f32_e32 v90, 0xbeb58ec6, v24
	v_fma_f32 v88, v24, s6, -v25
	v_fmac_f32_e32 v25, 0x3df6dbef, v24
	v_lshrrev_b32_e32 v24, 2, v78
	v_add_f32_e32 v18, v18, v68
	v_mul_u32_u24_e32 v24, 52, v24
	v_add_f32_e32 v18, v18, v75
	v_or_b32_e32 v24, v24, v15
	v_add_f32_e32 v18, v18, v86
	v_add_f32_e32 v74, v90, v74
	;; [unrolled: 1-line block ×3, first 2 shown]
	v_lshl_add_u32 v88, v24, 2, 0
	v_add_f32_e32 v22, v25, v22
	ds_write2_b32 v88, v18, v27 offset1:4
	ds_write2_b32 v88, v30, v33 offset0:8 offset1:12
	ds_write2_b32 v88, v39, v91 offset0:16 offset1:20
	;; [unrolled: 1-line block ×5, first 2 shown]
	ds_write_b32 v88, v26 offset:192
	v_lshrrev_b32_e32 v74, 2, v85
	s_and_saveexec_b64 s[2:3], s[0:1]
	s_cbranch_execz .LBB0_35
; %bb.34:
	v_sub_f32_e32 v22, v56, v59
	v_add_f32_e32 v18, v53, v58
	v_mul_f32_e32 v24, 0xbe750f2a, v22
	v_sub_f32_e32 v27, v51, v55
	v_fmamk_f32 v25, v18, 0xbf788fa5, v24
	v_add_f32_e32 v26, v50, v47
	v_mul_f32_e32 v29, 0x3eedf032, v27
	v_add_f32_e32 v25, v19, v25
	v_fmamk_f32 v30, v26, 0x3f62ad3f, v29
	v_sub_f32_e32 v31, v49, v54
	v_add_f32_e32 v25, v30, v25
	v_add_f32_e32 v30, v48, v46
	v_mul_f32_e32 v33, 0xbf29c268, v31
	v_fmamk_f32 v38, v30, 0xbf3f9e67, v33
	v_sub_f32_e32 v39, v43, v52
	v_add_f32_e32 v25, v38, v25
	v_add_f32_e32 v38, v42, v45
	v_mul_f32_e32 v85, 0x3f52af12, v39
	v_fma_f32 v24, v18, s13, -v24
	v_fmamk_f32 v89, v38, 0x3f116cb1, v85
	v_sub_f32_e32 v90, v41, v44
	v_add_f32_e32 v24, v19, v24
	v_fma_f32 v29, v26, s10, -v29
	v_add_f32_e32 v25, v89, v25
	v_add_f32_e32 v89, v40, v35
	v_mul_f32_e32 v91, 0xbf6f5d39, v90
	v_add_f32_e32 v24, v29, v24
	v_fma_f32 v29, v30, s12, -v33
	v_fmamk_f32 v92, v89, 0xbeb58ec6, v91
	v_sub_f32_e32 v93, v36, v37
	v_add_f32_e32 v24, v29, v24
	v_fma_f32 v29, v38, s7, -v85
	v_add_f32_e32 v25, v92, v25
	v_add_f32_e32 v92, v16, v34
	v_mul_f32_e32 v94, 0x3f7e222b, v93
	v_add_f32_e32 v24, v29, v24
	v_fma_f32 v29, v89, s11, -v91
	v_add_f32_e32 v24, v29, v24
	v_fma_f32 v29, v92, s6, -v94
	v_add_f32_e32 v24, v29, v24
	v_mul_f32_e32 v29, 0xbf29c268, v22
	v_fmamk_f32 v33, v18, 0xbf3f9e67, v29
	v_mul_f32_e32 v85, 0x3f7e222b, v27
	v_add_f32_e32 v33, v19, v33
	v_fmamk_f32 v91, v26, 0x3df6dbef, v85
	v_add_f32_e32 v33, v91, v33
	v_mul_f32_e32 v91, 0xbf52af12, v31
	v_fmamk_f32 v95, v92, 0x3df6dbef, v94
	v_fmamk_f32 v94, v30, 0x3f116cb1, v91
	v_add_f32_e32 v33, v94, v33
	v_mul_f32_e32 v94, 0x3e750f2a, v39
	v_fma_f32 v29, v18, s12, -v29
	v_add_f32_e32 v25, v95, v25
	v_fmamk_f32 v95, v38, 0xbf788fa5, v94
	v_add_f32_e32 v29, v19, v29
	v_fma_f32 v85, v26, s6, -v85
	v_add_f32_e32 v33, v95, v33
	v_mul_f32_e32 v95, 0x3eedf032, v90
	v_add_f32_e32 v29, v85, v29
	v_fma_f32 v85, v30, s7, -v91
	v_fmamk_f32 v96, v89, 0x3f62ad3f, v95
	v_add_f32_e32 v29, v85, v29
	v_fma_f32 v85, v38, s13, -v94
	v_add_f32_e32 v33, v96, v33
	v_mul_f32_e32 v96, 0xbf6f5d39, v93
	v_add_f32_e32 v29, v85, v29
	v_fma_f32 v85, v89, s10, -v95
	v_add_f32_e32 v29, v85, v29
	v_fma_f32 v85, v92, s11, -v96
	v_add_f32_e32 v29, v85, v29
	v_mul_f32_e32 v85, 0xbf6f5d39, v22
	v_fmamk_f32 v91, v18, 0xbeb58ec6, v85
	v_mul_f32_e32 v94, 0x3f29c268, v27
	v_add_f32_e32 v91, v19, v91
	v_fmamk_f32 v95, v26, 0xbf3f9e67, v94
	v_add_f32_e32 v91, v95, v91
	v_mul_f32_e32 v95, 0x3eedf032, v31
	v_fmamk_f32 v97, v92, 0xbeb58ec6, v96
	v_fmamk_f32 v96, v30, 0x3f62ad3f, v95
	v_add_f32_e32 v91, v96, v91
	v_mul_f32_e32 v96, 0xbf7e222b, v39
	v_fma_f32 v85, v18, s11, -v85
	v_add_f32_e32 v33, v97, v33
	v_fmamk_f32 v97, v38, 0x3df6dbef, v96
	v_add_f32_e32 v85, v19, v85
	v_fma_f32 v94, v26, s12, -v94
	v_add_f32_e32 v91, v97, v91
	v_mul_f32_e32 v97, 0x3e750f2a, v90
	v_add_f32_e32 v85, v94, v85
	v_fma_f32 v94, v30, s10, -v95
	v_fmamk_f32 v98, v89, 0xbf788fa5, v97
	v_add_f32_e32 v85, v94, v85
	v_fma_f32 v94, v38, s6, -v96
	;; [unrolled: 30-line block ×4, first 2 shown]
	v_add_f32_e32 v97, v102, v97
	v_mul_f32_e32 v102, 0x3eedf032, v93
	v_add_f32_e32 v96, v98, v96
	v_fma_f32 v98, v89, s6, -v101
	v_add_f32_e32 v96, v98, v96
	v_fma_f32 v98, v92, s10, -v102
	v_mul_f32_e32 v22, 0xbeedf032, v22
	v_add_f32_e32 v96, v98, v96
	v_fmamk_f32 v98, v18, 0x3f62ad3f, v22
	v_fma_f32 v18, v18, s10, -v22
	v_add_f32_e32 v98, v19, v98
	v_add_f32_e32 v18, v19, v18
	;; [unrolled: 1-line block ×5, first 2 shown]
	v_mul_f32_e32 v27, 0xbf52af12, v27
	v_add_f32_e32 v19, v19, v42
	v_mul_f32_e32 v31, 0xbf7e222b, v31
	v_fma_f32 v22, v26, s7, -v27
	v_add_f32_e32 v19, v19, v40
	v_mul_f32_e32 v39, 0xbf6f5d39, v39
	v_add_f32_e32 v18, v22, v18
	v_fma_f32 v22, v30, s6, -v31
	v_add_f32_e32 v19, v19, v16
	v_mul_f32_e32 v90, 0xbf29c268, v90
	v_add_f32_e32 v18, v22, v18
	v_fma_f32 v22, v38, s11, -v39
	v_add_f32_e32 v19, v19, v34
	v_fmamk_f32 v99, v26, 0x3f116cb1, v27
	v_mul_f32_e32 v93, 0xbe750f2a, v93
	v_add_f32_e32 v18, v22, v18
	v_fma_f32 v22, v89, s12, -v90
	v_add_f32_e32 v19, v19, v35
	v_add_f32_e32 v98, v99, v98
	v_fmamk_f32 v99, v30, 0x3df6dbef, v31
	v_add_f32_e32 v18, v22, v18
	v_fma_f32 v22, v92, s13, -v93
	v_add_f32_e32 v19, v19, v45
	v_add_f32_e32 v98, v99, v98
	v_fmamk_f32 v99, v38, 0xbeb58ec6, v39
	v_add_f32_e32 v18, v22, v18
	v_add_f32_e32 v19, v19, v46
	v_mul_lo_u32 v22, v74, 52
	v_add_f32_e32 v98, v99, v98
	v_fmamk_f32 v99, v89, 0xbf3f9e67, v90
	v_add_f32_e32 v19, v19, v47
	v_or_b32_e32 v22, v22, v15
	v_fmamk_f32 v103, v92, 0x3f62ad3f, v102
	v_add_f32_e32 v98, v99, v98
	v_fmamk_f32 v99, v92, 0xbf788fa5, v93
	v_add_f32_e32 v19, v19, v58
	v_lshl_add_u32 v22, v22, 2, 0
	v_add_f32_e32 v97, v103, v97
	v_add_f32_e32 v98, v99, v98
	ds_write2_b32 v22, v19, v18 offset1:4
	ds_write2_b32 v22, v96, v94 offset0:8 offset1:12
	ds_write2_b32 v22, v85, v29 offset0:16 offset1:20
	;; [unrolled: 1-line block ×5, first 2 shown]
	ds_write_b32 v22, v98 offset:192
.LBB0_35:
	s_or_b64 exec, exec, s[2:3]
	v_add_f32_e32 v18, v20, v76
	v_add_f32_e32 v18, v18, v72
	;; [unrolled: 1-line block ×11, first 2 shown]
	v_sub_f32_e32 v19, v73, v86
	v_add_f32_e32 v85, v18, v87
	v_add_f32_e32 v18, v76, v87
	v_mul_f32_e32 v22, 0xbeedf032, v19
	v_mul_f32_e32 v25, 0xbf52af12, v19
	;; [unrolled: 1-line block ×6, first 2 shown]
	v_fmamk_f32 v24, v18, 0x3f62ad3f, v22
	v_fma_f32 v22, v18, s10, -v22
	v_fmamk_f32 v26, v18, 0x3f116cb1, v25
	v_fma_f32 v25, v18, s7, -v25
	;; [unrolled: 2-line block ×6, first 2 shown]
	v_add_f32_e32 v24, v20, v24
	v_add_f32_e32 v22, v20, v22
	;; [unrolled: 1-line block ×12, first 2 shown]
	v_sub_f32_e32 v20, v71, v75
	v_add_f32_e32 v19, v72, v77
	v_mul_f32_e32 v71, 0xbf52af12, v20
	v_fmamk_f32 v72, v19, 0x3f116cb1, v71
	v_fma_f32 v71, v19, s7, -v71
	v_add_f32_e32 v22, v71, v22
	v_mul_f32_e32 v71, 0xbf6f5d39, v20
	v_add_f32_e32 v24, v72, v24
	v_fmamk_f32 v72, v19, 0xbeb58ec6, v71
	v_fma_f32 v71, v19, s11, -v71
	v_add_f32_e32 v25, v71, v25
	v_mul_f32_e32 v71, 0xbe750f2a, v20
	v_add_f32_e32 v26, v72, v26
	v_fmamk_f32 v72, v19, 0xbf788fa5, v71
	v_fma_f32 v71, v19, s13, -v71
	v_add_f32_e32 v27, v71, v27
	v_mul_f32_e32 v71, 0x3f29c268, v20
	v_add_f32_e32 v29, v72, v29
	v_fmamk_f32 v72, v19, 0xbf3f9e67, v71
	v_fma_f32 v71, v19, s12, -v71
	v_add_f32_e32 v30, v71, v30
	v_mul_f32_e32 v71, 0x3f7e222b, v20
	v_add_f32_e32 v31, v72, v31
	v_fmamk_f32 v72, v19, 0x3df6dbef, v71
	v_fma_f32 v71, v19, s6, -v71
	v_mul_f32_e32 v20, 0x3eedf032, v20
	v_add_f32_e32 v33, v71, v33
	v_fmamk_f32 v71, v19, 0x3f62ad3f, v20
	v_fma_f32 v19, v19, s10, -v20
	v_sub_f32_e32 v20, v67, v68
	v_add_f32_e32 v18, v19, v18
	v_add_f32_e32 v19, v70, v69
	v_mul_f32_e32 v67, 0xbf7e222b, v20
	v_fmamk_f32 v68, v19, 0x3df6dbef, v67
	v_fma_f32 v67, v19, s6, -v67
	v_add_f32_e32 v22, v67, v22
	v_mul_f32_e32 v67, 0xbe750f2a, v20
	v_add_f32_e32 v24, v68, v24
	v_fmamk_f32 v68, v19, 0xbf788fa5, v67
	v_fma_f32 v67, v19, s13, -v67
	v_add_f32_e32 v25, v67, v25
	v_mul_f32_e32 v67, 0x3f6f5d39, v20
	v_add_f32_e32 v26, v68, v26
	v_fmamk_f32 v68, v19, 0xbeb58ec6, v67
	v_fma_f32 v67, v19, s11, -v67
	v_add_f32_e32 v27, v67, v27
	v_mul_f32_e32 v67, 0x3eedf032, v20
	v_add_f32_e32 v29, v68, v29
	v_fmamk_f32 v68, v19, 0x3f62ad3f, v67
	v_fma_f32 v67, v19, s10, -v67
	v_add_f32_e32 v30, v67, v30
	v_mul_f32_e32 v67, 0xbf52af12, v20
	v_add_f32_e32 v31, v68, v31
	v_fmamk_f32 v68, v19, 0x3f116cb1, v67
	v_fma_f32 v67, v19, s7, -v67
	v_mul_f32_e32 v20, 0xbf29c268, v20
	v_add_f32_e32 v33, v67, v33
	v_fmamk_f32 v67, v19, 0xbf3f9e67, v20
	v_fma_f32 v19, v19, s12, -v20
	v_sub_f32_e32 v20, v65, v61
	v_add_f32_e32 v18, v19, v18
	;; [unrolled: 30-line block ×4, first 2 shown]
	v_add_f32_e32 v19, v23, v32
	v_mul_f32_e32 v21, 0xbe750f2a, v20
	v_add_f32_e32 v38, v72, v38
	v_fmamk_f32 v23, v19, 0xbf788fa5, v21
	v_fma_f32 v21, v19, s13, -v21
	v_add_f32_e32 v38, v68, v38
	v_add_f32_e32 v68, v21, v22
	v_mul_f32_e32 v21, 0x3eedf032, v20
	v_fmamk_f32 v22, v19, 0x3f62ad3f, v21
	v_fma_f32 v21, v19, s10, -v21
	v_add_f32_e32 v70, v21, v25
	v_mul_f32_e32 v21, 0xbf29c268, v20
	v_add_f32_e32 v69, v22, v26
	v_fmamk_f32 v22, v19, 0xbf3f9e67, v21
	v_fma_f32 v21, v19, s12, -v21
	v_add_f32_e32 v72, v21, v27
	v_mul_f32_e32 v21, 0x3f52af12, v20
	v_add_f32_e32 v39, v71, v39
	v_add_f32_e32 v71, v22, v29
	v_fmamk_f32 v22, v19, 0x3f116cb1, v21
	v_fma_f32 v21, v19, s7, -v21
	v_add_f32_e32 v39, v67, v39
	v_add_f32_e32 v75, v21, v30
	v_mul_f32_e32 v21, 0xbf6f5d39, v20
	v_add_f32_e32 v38, v63, v38
	v_add_f32_e32 v39, v61, v39
	v_add_f32_e32 v73, v22, v31
	v_fmamk_f32 v22, v19, 0xbeb58ec6, v21
	v_fma_f32 v21, v19, s11, -v21
	v_mul_f32_e32 v20, 0x3f7e222b, v20
	v_add_f32_e32 v38, v60, v38
	v_add_f32_e32 v39, v57, v39
	;; [unrolled: 1-line block ×3, first 2 shown]
	v_fmamk_f32 v21, v19, 0x3df6dbef, v20
	v_add_f32_e32 v76, v22, v38
	v_add_f32_e32 v86, v21, v39
	v_fma_f32 v19, v19, s6, -v20
	v_add_u32_e32 v38, 0x800, v82
	v_add_u32_e32 v57, 0xc00, v82
	;; [unrolled: 1-line block ×5, first 2 shown]
	v_add_f32_e32 v67, v23, v24
	v_add_f32_e32 v87, v19, v18
	s_waitcnt lgkmcnt(0)
	; wave barrier
	s_waitcnt lgkmcnt(0)
	ds_read2_b32 v[18:19], v82 offset1:208
	ds_read_b32 v63, v84
	ds_read_b32 v62, v13
	ds_read2_b32 v[24:25], v38 offset0:60 offset1:112
	ds_read2_b32 v[32:33], v57 offset0:12 offset1:64
	;; [unrolled: 1-line block ×3, first 2 shown]
	ds_read_b32 v61, v83
	ds_read2_b32 v[28:29], v39 offset0:4 offset1:108
	ds_read2_b32 v[30:31], v65 offset0:32 offset1:136
	ds_read2_b32 v[26:27], v38 offset0:164 offset1:216
	ds_read2_b32 v[22:23], v66 offset0:92 offset1:144
	ds_read_b32 v64, v5
	ds_read_b32 v60, v3
	s_waitcnt lgkmcnt(0)
	; wave barrier
	s_waitcnt lgkmcnt(0)
	ds_write2_b32 v88, v85, v67 offset1:4
	ds_write2_b32 v88, v69, v71 offset0:8 offset1:12
	ds_write2_b32 v88, v73, v76 offset0:16 offset1:20
	;; [unrolled: 1-line block ×5, first 2 shown]
	ds_write_b32 v88, v68 offset:192
	s_and_saveexec_b64 s[2:3], s[0:1]
	s_cbranch_execz .LBB0_37
; %bb.36:
	v_add_f32_e32 v67, v17, v56
	v_add_f32_e32 v67, v67, v51
	v_add_f32_e32 v67, v67, v49
	v_add_f32_e32 v67, v67, v43
	v_add_f32_e32 v67, v67, v41
	v_add_f32_e32 v67, v67, v36
	v_add_f32_e32 v67, v67, v37
	v_add_f32_e32 v67, v67, v44
	v_add_f32_e32 v67, v67, v52
	v_add_f32_e32 v67, v67, v54
	v_sub_f32_e32 v53, v53, v58
	v_add_f32_e32 v67, v67, v55
	v_add_f32_e32 v56, v56, v59
	v_mul_f32_e32 v58, 0xbeedf032, v53
	s_mov_b32 s0, 0x3f62ad3f
	v_mul_f32_e32 v68, 0xbf52af12, v53
	s_mov_b32 s1, 0x3f116cb1
	v_mul_f32_e32 v70, 0xbf7e222b, v53
	v_mul_f32_e32 v72, 0xbf6f5d39, v53
	s_mov_b32 s7, 0xbeb58ec6
	v_mul_f32_e32 v75, 0xbf29c268, v53
	s_mov_b32 s10, 0xbf3f9e67
	;; [unrolled: 2-line block ×3, first 2 shown]
	v_sub_f32_e32 v47, v50, v47
	v_add_f32_e32 v67, v67, v59
	v_fmamk_f32 v59, v56, 0x3f62ad3f, v58
	v_fma_f32 v58, v56, s0, -v58
	v_fmamk_f32 v69, v56, 0x3f116cb1, v68
	v_fma_f32 v68, v56, s1, -v68
	v_fmamk_f32 v71, v56, 0x3df6dbef, v70
	v_fma_f32 v70, v56, s6, -v70
	v_fmamk_f32 v73, v56, 0xbeb58ec6, v72
	v_fma_f32 v72, v56, s7, -v72
	v_fmamk_f32 v76, v56, 0xbf3f9e67, v75
	v_fma_f32 v75, v56, s10, -v75
	v_fmamk_f32 v77, v56, 0xbf788fa5, v53
	v_fma_f32 v53, v56, s11, -v53
	v_add_f32_e32 v51, v51, v55
	v_mul_f32_e32 v50, 0xbf52af12, v47
	v_add_f32_e32 v59, v17, v59
	v_add_f32_e32 v58, v17, v58
	;; [unrolled: 1-line block ×12, first 2 shown]
	v_fmamk_f32 v53, v51, 0x3f116cb1, v50
	v_fma_f32 v50, v51, s1, -v50
	v_mul_f32_e32 v55, 0xbf6f5d39, v47
	v_add_f32_e32 v50, v50, v58
	v_fmamk_f32 v56, v51, 0xbeb58ec6, v55
	v_fma_f32 v55, v51, s7, -v55
	v_mul_f32_e32 v58, 0xbe750f2a, v47
	v_add_f32_e32 v53, v53, v59
	v_add_f32_e32 v55, v55, v68
	v_fmamk_f32 v59, v51, 0xbf788fa5, v58
	v_fma_f32 v58, v51, s11, -v58
	v_mul_f32_e32 v68, 0x3f29c268, v47
	v_add_f32_e32 v56, v56, v69
	v_add_f32_e32 v58, v58, v70
	v_fmamk_f32 v69, v51, 0xbf3f9e67, v68
	v_fma_f32 v68, v51, s10, -v68
	v_mul_f32_e32 v70, 0x3f7e222b, v47
	v_mul_f32_e32 v47, 0x3eedf032, v47
	v_add_f32_e32 v68, v68, v72
	v_fmamk_f32 v72, v51, 0x3f62ad3f, v47
	v_fma_f32 v47, v51, s0, -v47
	v_sub_f32_e32 v46, v48, v46
	v_add_f32_e32 v17, v47, v17
	v_add_f32_e32 v47, v49, v54
	v_mul_f32_e32 v48, 0xbf7e222b, v46
	v_fmamk_f32 v49, v47, 0x3df6dbef, v48
	v_fma_f32 v48, v47, s6, -v48
	v_add_f32_e32 v48, v48, v50
	v_mul_f32_e32 v50, 0xbe750f2a, v46
	v_add_f32_e32 v59, v59, v71
	v_fmamk_f32 v71, v51, 0x3df6dbef, v70
	v_fma_f32 v70, v51, s6, -v70
	v_add_f32_e32 v49, v49, v53
	v_fmamk_f32 v51, v47, 0xbf788fa5, v50
	v_fma_f32 v50, v47, s11, -v50
	v_mul_f32_e32 v53, 0x3f6f5d39, v46
	v_add_f32_e32 v50, v50, v55
	v_fmamk_f32 v54, v47, 0xbeb58ec6, v53
	v_fma_f32 v53, v47, s7, -v53
	v_mul_f32_e32 v55, 0x3eedf032, v46
	v_add_f32_e32 v51, v51, v56
	v_add_f32_e32 v53, v53, v58
	v_fmamk_f32 v56, v47, 0x3f62ad3f, v55
	v_fma_f32 v55, v47, s0, -v55
	v_mul_f32_e32 v58, 0xbf52af12, v46
	v_mul_f32_e32 v46, 0xbf29c268, v46
	v_sub_f32_e32 v42, v42, v45
	v_add_f32_e32 v55, v55, v68
	v_fmamk_f32 v68, v47, 0xbf3f9e67, v46
	v_fma_f32 v46, v47, s10, -v46
	v_add_f32_e32 v43, v43, v52
	v_mul_f32_e32 v45, 0xbf6f5d39, v42
	v_add_f32_e32 v54, v54, v59
	v_fmamk_f32 v59, v47, 0x3f116cb1, v58
	v_fma_f32 v58, v47, s1, -v58
	v_add_f32_e32 v17, v46, v17
	v_fmamk_f32 v46, v43, 0xbeb58ec6, v45
	v_fma_f32 v45, v43, s7, -v45
	v_mul_f32_e32 v47, 0x3f29c268, v42
	v_add_f32_e32 v46, v46, v49
	v_add_f32_e32 v45, v45, v48
	v_fmamk_f32 v48, v43, 0xbf3f9e67, v47
	v_fma_f32 v47, v43, s10, -v47
	v_mul_f32_e32 v49, 0x3eedf032, v42
	v_add_f32_e32 v48, v48, v51
	;; [unrolled: 5-line block ×3, first 2 shown]
	v_fmamk_f32 v52, v43, 0x3df6dbef, v51
	v_fma_f32 v51, v43, s6, -v51
	v_mul_f32_e32 v53, 0x3e750f2a, v42
	v_mul_f32_e32 v42, 0x3f52af12, v42
	v_sub_f32_e32 v35, v40, v35
	v_add_f32_e32 v51, v51, v55
	v_fmamk_f32 v55, v43, 0x3f116cb1, v42
	v_fma_f32 v42, v43, s1, -v42
	v_add_f32_e32 v41, v41, v44
	v_mul_f32_e32 v40, 0xbf29c268, v35
	v_add_f32_e32 v50, v50, v54
	v_fmamk_f32 v54, v43, 0xbf788fa5, v53
	v_fma_f32 v53, v43, s11, -v53
	v_add_f32_e32 v17, v42, v17
	v_fmamk_f32 v42, v41, 0xbf3f9e67, v40
	v_fma_f32 v40, v41, s10, -v40
	v_mul_f32_e32 v43, 0x3f7e222b, v35
	v_add_f32_e32 v40, v40, v45
	v_fmamk_f32 v44, v41, 0x3df6dbef, v43
	v_fma_f32 v43, v41, s6, -v43
	v_mul_f32_e32 v45, 0xbf52af12, v35
	v_add_f32_e32 v42, v42, v46
	v_add_f32_e32 v43, v43, v47
	v_fmamk_f32 v46, v41, 0x3f116cb1, v45
	v_fma_f32 v45, v41, s1, -v45
	v_mul_f32_e32 v47, 0x3e750f2a, v35
	v_add_f32_e32 v44, v44, v48
	v_add_f32_e32 v45, v45, v49
	v_fmamk_f32 v48, v41, 0xbf788fa5, v47
	v_fma_f32 v47, v41, s11, -v47
	v_mul_f32_e32 v49, 0x3eedf032, v35
	v_mul_f32_e32 v35, 0xbf6f5d39, v35
	v_add_f32_e32 v47, v47, v51
	v_fmamk_f32 v51, v41, 0xbeb58ec6, v35
	v_fma_f32 v35, v41, s7, -v35
	v_sub_f32_e32 v16, v16, v34
	v_add_f32_e32 v17, v35, v17
	v_add_f32_e32 v35, v36, v37
	v_mul_f32_e32 v34, 0xbe750f2a, v16
	v_fmamk_f32 v36, v35, 0xbf788fa5, v34
	v_fma_f32 v34, v35, s11, -v34
	v_mul_f32_e32 v37, 0x3eedf032, v16
	v_add_f32_e32 v46, v46, v50
	v_fmamk_f32 v50, v41, 0x3f62ad3f, v49
	v_fma_f32 v49, v41, s0, -v49
	v_add_f32_e32 v34, v34, v40
	v_fmamk_f32 v40, v35, 0x3f62ad3f, v37
	v_fma_f32 v37, v35, s0, -v37
	v_mul_f32_e32 v41, 0xbf29c268, v16
	v_add_f32_e32 v36, v36, v42
	v_add_f32_e32 v37, v37, v43
	v_fmamk_f32 v42, v35, 0xbf3f9e67, v41
	v_fma_f32 v41, v35, s10, -v41
	v_mul_f32_e32 v43, 0x3f52af12, v16
	v_add_f32_e32 v40, v40, v44
	v_add_f32_e32 v41, v41, v45
	v_fmamk_f32 v44, v35, 0x3f116cb1, v43
	v_fma_f32 v43, v35, s1, -v43
	v_mul_f32_e32 v45, 0xbf6f5d39, v16
	v_mul_f32_e32 v16, 0x3f7e222b, v16
	v_add_f32_e32 v69, v69, v73
	v_add_f32_e32 v71, v71, v76
	;; [unrolled: 1-line block ×5, first 2 shown]
	v_fmamk_f32 v47, v35, 0x3df6dbef, v16
	v_fma_f32 v16, v35, s6, -v16
	v_add_f32_e32 v56, v56, v69
	v_add_f32_e32 v59, v59, v71
	;; [unrolled: 1-line block ×5, first 2 shown]
	v_mul_lo_u32 v17, v74, 52
	v_add_f32_e32 v52, v52, v56
	v_add_f32_e32 v54, v54, v59
	v_add_f32_e32 v53, v53, v58
	v_add_f32_e32 v55, v55, v68
	v_or_b32_e32 v15, v17, v15
	v_add_f32_e32 v48, v48, v52
	v_add_f32_e32 v50, v50, v54
	;; [unrolled: 1-line block ×5, first 2 shown]
	v_fmamk_f32 v46, v35, 0xbeb58ec6, v45
	v_fma_f32 v45, v35, s7, -v45
	v_lshl_add_u32 v15, v15, 2, 0
	v_add_f32_e32 v44, v44, v48
	v_add_f32_e32 v46, v46, v50
	;; [unrolled: 1-line block ×4, first 2 shown]
	ds_write2_b32 v15, v67, v36 offset1:4
	ds_write2_b32 v15, v40, v42 offset0:8 offset1:12
	ds_write2_b32 v15, v44, v46 offset0:16 offset1:20
	;; [unrolled: 1-line block ×5, first 2 shown]
	ds_write_b32 v15, v34 offset:192
.LBB0_37:
	s_or_b64 exec, exec, s[2:3]
	v_mul_u32_u24_e32 v15, 6, v78
	v_lshlrev_b32_e32 v15, 3, v15
	s_movk_i32 s0, 0x4f
	s_waitcnt lgkmcnt(0)
	; wave barrier
	s_waitcnt lgkmcnt(0)
	global_load_dwordx4 v[34:37], v15, s[4:5] offset:400
	global_load_dwordx4 v[40:43], v15, s[4:5] offset:416
	;; [unrolled: 1-line block ×3, first 2 shown]
	v_mul_lo_u16_sdwa v15, v81, s0 dst_sel:DWORD dst_unused:UNUSED_PAD src0_sel:BYTE_0 src1_sel:DWORD
	v_lshrrev_b16_e32 v15, 12, v15
	v_mul_lo_u16_e32 v15, 52, v15
	v_sub_u16_e32 v15, v81, v15
	v_and_b32_e32 v15, 0xff, v15
	v_mul_u32_u24_e32 v16, 6, v15
	v_lshlrev_b32_e32 v16, 3, v16
	global_load_dwordx4 v[48:51], v16, s[4:5] offset:400
	global_load_dwordx4 v[52:55], v16, s[4:5] offset:416
	;; [unrolled: 1-line block ×3, first 2 shown]
	ds_read2_b32 v[16:17], v82 offset1:208
	ds_read_b32 v56, v84
	ds_read_b32 v13, v13
	ds_read2_b32 v[58:59], v38 offset0:60 offset1:112
	ds_read2_b32 v[72:73], v57 offset0:12 offset1:64
	;; [unrolled: 1-line block ×3, first 2 shown]
	ds_read_b32 v81, v83
	ds_read2_b32 v[76:77], v39 offset0:4 offset1:108
	ds_read_b32 v85, v5
	ds_read2_b32 v[86:87], v65 offset0:32 offset1:136
	ds_read2_b32 v[88:89], v38 offset0:164 offset1:216
	;; [unrolled: 1-line block ×3, first 2 shown]
	ds_read_b32 v65, v3
	s_mov_b32 s0, 0x3f5ff5aa
	s_mov_b32 s1, 0x3f3bfb3b
	;; [unrolled: 1-line block ×4, first 2 shown]
	s_waitcnt lgkmcnt(0)
	; wave barrier
	s_waitcnt lgkmcnt(0)
	v_lshl_add_u32 v15, v15, 2, 0
	s_waitcnt vmcnt(5)
	v_mul_f32_e32 v90, v85, v35
	s_waitcnt vmcnt(4)
	v_mul_f32_e32 v95, v62, v41
	v_mul_f32_e32 v96, v59, v43
	s_waitcnt vmcnt(3)
	v_mul_f32_e32 v98, v72, v45
	v_mul_f32_e32 v91, v64, v35
	;; [unrolled: 1-line block ×15, first 2 shown]
	v_fmac_f32_e32 v95, v13, v40
	v_fma_f32 v13, v25, v42, -v96
	v_fma_f32 v25, v32, v44, -v98
	s_waitcnt vmcnt(2)
	v_mul_f32_e32 v32, v76, v49
	v_mul_f32_e32 v41, v31, v41
	;; [unrolled: 1-line block ×7, first 2 shown]
	v_fma_f32 v64, v64, v34, -v90
	v_fmac_f32_e32 v91, v85, v34
	v_fma_f32 v63, v63, v36, -v92
	v_fmac_f32_e32 v93, v56, v36
	v_fmac_f32_e32 v99, v72, v44
	v_fma_f32 v21, v21, v46, -v100
	v_fmac_f32_e32 v101, v75, v46
	v_fma_f32 v19, v19, v34, -v102
	;; [unrolled: 2-line block ×4, first 2 shown]
	v_fma_f32 v31, v33, v44, -v106
	v_mul_f32_e32 v33, v28, v49
	v_mul_f32_e32 v34, v86, v51
	;; [unrolled: 1-line block ×3, first 2 shown]
	v_fma_f32 v28, v28, v48, -v32
	s_waitcnt vmcnt(1)
	v_mul_f32_e32 v32, v89, v55
	v_fma_f32 v56, v62, v40, -v94
	v_fmac_f32_e32 v97, v59, v42
	v_fmac_f32_e32 v41, v87, v40
	v_fma_f32 v26, v26, v42, -v105
	v_fmac_f32_e32 v43, v88, v42
	v_fmac_f32_e32 v45, v73, v44
	v_fma_f32 v22, v22, v46, -v107
	v_fmac_f32_e32 v47, v66, v46
	v_mul_f32_e32 v40, v58, v53
	v_mul_f32_e32 v42, v24, v53
	v_fma_f32 v30, v30, v50, -v34
	v_fmac_f32_e32 v36, v86, v50
	v_fma_f32 v32, v27, v54, -v32
	v_mul_f32_e32 v27, v27, v55
	v_add_f32_e32 v44, v64, v21
	v_add_f32_e32 v46, v91, v101
	;; [unrolled: 1-line block ×4, first 2 shown]
	v_fma_f32 v24, v24, v52, -v40
	v_fmac_f32_e32 v42, v58, v52
	v_fmac_f32_e32 v27, v89, v54
	v_sub_f32_e32 v21, v64, v21
	v_sub_f32_e32 v25, v63, v25
	;; [unrolled: 1-line block ×3, first 2 shown]
	v_add_f32_e32 v52, v56, v13
	v_add_f32_e32 v53, v95, v97
	v_sub_f32_e32 v13, v13, v56
	v_sub_f32_e32 v54, v97, v95
	v_add_f32_e32 v55, v49, v44
	v_add_f32_e32 v56, v50, v46
	v_fmac_f32_e32 v33, v76, v48
	v_sub_f32_e32 v48, v91, v101
	v_sub_f32_e32 v58, v49, v44
	;; [unrolled: 1-line block ×7, first 2 shown]
	v_add_f32_e32 v62, v13, v25
	v_add_f32_e32 v63, v54, v51
	v_sub_f32_e32 v64, v13, v25
	v_sub_f32_e32 v66, v54, v51
	;; [unrolled: 1-line block ×3, first 2 shown]
	v_add_f32_e32 v52, v52, v55
	v_add_f32_e32 v53, v53, v56
	v_sub_f32_e32 v13, v21, v13
	v_sub_f32_e32 v54, v48, v54
	;; [unrolled: 1-line block ×3, first 2 shown]
	v_add_f32_e32 v21, v62, v21
	v_add_f32_e32 v48, v63, v48
	;; [unrolled: 1-line block ×4, first 2 shown]
	v_mul_f32_e32 v16, 0x3f4a47b2, v44
	v_mul_f32_e32 v44, 0x3f4a47b2, v46
	;; [unrolled: 1-line block ×7, first 2 shown]
	v_fmamk_f32 v52, v52, 0xbf955555, v18
	v_fmamk_f32 v53, v53, 0xbf955555, v55
	v_fma_f32 v46, v58, s1, -v46
	v_fma_f32 v58, v58, s2, -v16
	v_fmac_f32_e32 v16, 0x3d64c772, v49
	v_fma_f32 v49, v59, s2, -v44
	v_fmac_f32_e32 v44, 0x3d64c772, v50
	v_fma_f32 v25, v25, s0, -v62
	v_fmac_f32_e32 v62, 0x3eae86e6, v13
	v_fma_f32 v50, v51, s0, -v63
	v_fma_f32 v13, v13, s3, -v64
	v_mul_f32_e32 v66, 0x3f5ff5aa, v51
	v_fma_f32 v56, v59, s1, -v56
	v_add_f32_e32 v44, v44, v53
	v_add_f32_e32 v46, v46, v52
	;; [unrolled: 1-line block ×3, first 2 shown]
	v_fmac_f32_e32 v62, 0x3ee1c552, v21
	v_fmac_f32_e32 v50, 0x3ee1c552, v48
	v_fmac_f32_e32 v13, 0x3ee1c552, v21
	v_fmac_f32_e32 v63, 0x3eae86e6, v54
	v_fma_f32 v51, v54, s3, -v66
	v_add_f32_e32 v16, v16, v52
	v_add_f32_e32 v54, v56, v53
	;; [unrolled: 1-line block ×3, first 2 shown]
	v_sub_f32_e32 v53, v44, v62
	v_sub_f32_e32 v56, v49, v13
	v_sub_f32_e32 v58, v46, v50
	v_add_f32_e32 v46, v50, v46
	v_add_f32_e32 v13, v13, v49
	;; [unrolled: 1-line block ×5, first 2 shown]
	v_sub_f32_e32 v19, v19, v22
	v_sub_f32_e32 v22, v35, v47
	v_add_f32_e32 v35, v17, v31
	v_add_f32_e32 v47, v37, v45
	s_waitcnt vmcnt(0)
	v_mul_f32_e32 v40, v67, v71
	v_fmac_f32_e32 v63, 0x3ee1c552, v48
	v_fmac_f32_e32 v25, 0x3ee1c552, v21
	;; [unrolled: 1-line block ×3, first 2 shown]
	v_sub_f32_e32 v17, v17, v31
	v_sub_f32_e32 v31, v37, v45
	v_add_f32_e32 v37, v29, v26
	v_add_f32_e32 v45, v41, v43
	v_sub_f32_e32 v26, v26, v29
	v_sub_f32_e32 v29, v43, v41
	v_add_f32_e32 v41, v35, v44
	v_add_f32_e32 v43, v47, v50
	v_fma_f32 v40, v23, v70, -v40
	v_mul_f32_e32 v23, v23, v71
	v_add_f32_e32 v21, v63, v16
	v_add_f32_e32 v48, v51, v52
	;; [unrolled: 1-line block ×3, first 2 shown]
	v_sub_f32_e32 v54, v54, v25
	v_sub_f32_e32 v25, v52, v51
	;; [unrolled: 1-line block ×9, first 2 shown]
	v_add_f32_e32 v62, v26, v17
	v_add_f32_e32 v63, v29, v31
	v_sub_f32_e32 v64, v26, v17
	v_sub_f32_e32 v66, v29, v31
	;; [unrolled: 1-line block ×4, first 2 shown]
	v_add_f32_e32 v37, v37, v41
	v_add_f32_e32 v41, v45, v43
	v_fmac_f32_e32 v23, v67, v70
	v_sub_f32_e32 v26, v19, v26
	v_sub_f32_e32 v29, v22, v29
	v_add_f32_e32 v19, v62, v19
	v_add_f32_e32 v22, v63, v22
	;; [unrolled: 1-line block ×4, first 2 shown]
	v_mul_f32_e32 v44, 0x3f4a47b2, v44
	v_mul_f32_e32 v45, 0x3f4a47b2, v50
	;; [unrolled: 1-line block ×9, first 2 shown]
	v_fmamk_f32 v37, v37, 0xbf955555, v43
	v_fmamk_f32 v41, v41, 0xbf955555, v61
	v_fma_f32 v50, v51, s1, -v50
	v_fma_f32 v62, v52, s1, -v62
	;; [unrolled: 1-line block ×3, first 2 shown]
	v_fmac_f32_e32 v44, 0x3d64c772, v35
	v_fma_f32 v35, v52, s2, -v45
	v_fma_f32 v17, v17, s0, -v63
	v_fmac_f32_e32 v63, 0x3eae86e6, v26
	v_fma_f32 v31, v31, s0, -v64
	v_fmac_f32_e32 v64, 0x3eae86e6, v29
	v_fma_f32 v26, v26, s3, -v66
	v_fma_f32 v29, v29, s3, -v67
	;; [unrolled: 1-line block ×3, first 2 shown]
	v_mul_f32_e32 v20, v20, v69
	v_fmac_f32_e32 v45, 0x3d64c772, v47
	v_add_f32_e32 v44, v44, v37
	v_add_f32_e32 v47, v50, v37
	v_add_f32_e32 v50, v62, v41
	v_add_f32_e32 v37, v51, v37
	v_add_f32_e32 v35, v35, v41
	v_fmac_f32_e32 v64, 0x3ee1c552, v22
	v_fmac_f32_e32 v17, 0x3ee1c552, v19
	;; [unrolled: 1-line block ×6, first 2 shown]
	v_add_f32_e32 v45, v45, v41
	v_fmac_f32_e32 v63, 0x3ee1c552, v19
	v_add_f32_e32 v19, v64, v44
	v_add_f32_e32 v22, v29, v37
	v_sub_f32_e32 v62, v35, v26
	v_sub_f32_e32 v41, v47, v31
	v_add_f32_e32 v66, v17, v50
	v_add_f32_e32 v31, v31, v47
	v_sub_f32_e32 v47, v50, v17
	v_sub_f32_e32 v17, v37, v29
	v_add_f32_e32 v35, v26, v35
	v_sub_f32_e32 v26, v44, v64
	v_add_f32_e32 v29, v28, v40
	v_add_f32_e32 v44, v33, v23
	v_sub_f32_e32 v23, v33, v23
	v_add_f32_e32 v33, v30, v34
	v_sub_f32_e32 v28, v28, v40
	;; [unrolled: 2-line block ×3, first 2 shown]
	v_sub_f32_e32 v20, v36, v20
	v_add_f32_e32 v34, v24, v32
	v_add_f32_e32 v36, v42, v27
	v_sub_f32_e32 v24, v32, v24
	v_sub_f32_e32 v27, v27, v42
	v_add_f32_e32 v32, v33, v29
	v_sub_f32_e32 v51, v45, v63
	v_add_f32_e32 v37, v63, v45
	v_add_f32_e32 v42, v40, v44
	v_sub_f32_e32 v45, v33, v29
	v_sub_f32_e32 v50, v40, v44
	;; [unrolled: 1-line block ×5, first 2 shown]
	v_add_f32_e32 v63, v27, v20
	v_sub_f32_e32 v64, v24, v30
	v_sub_f32_e32 v67, v27, v20
	v_add_f32_e32 v32, v34, v32
	v_sub_f32_e32 v40, v36, v40
	v_add_f32_e32 v52, v24, v30
	v_sub_f32_e32 v27, v23, v27
	v_sub_f32_e32 v30, v30, v28
	v_sub_f32_e32 v20, v20, v23
	v_add_f32_e32 v34, v36, v42
	v_add_f32_e32 v23, v63, v23
	;; [unrolled: 1-line block ×3, first 2 shown]
	v_mul_f32_e32 v29, 0x3f4a47b2, v29
	v_mul_f32_e32 v42, 0x3f4a47b2, v44
	;; [unrolled: 1-line block ×5, first 2 shown]
	v_sub_f32_e32 v24, v28, v24
	v_add_f32_e32 v60, v65, v34
	v_mul_f32_e32 v65, 0x3f5ff5aa, v30
	v_mul_f32_e32 v67, 0x3f5ff5aa, v20
	v_fmamk_f32 v32, v32, 0xbf955555, v36
	v_fma_f32 v44, v45, s1, -v44
	v_fma_f32 v45, v45, s2, -v29
	v_fmac_f32_e32 v29, 0x3d64c772, v33
	v_fma_f32 v20, v20, s0, -v64
	v_fmac_f32_e32 v64, 0x3eae86e6, v27
	v_add_f32_e32 v28, v52, v28
	v_mul_f32_e32 v52, 0x3d64c772, v40
	v_fmamk_f32 v34, v34, 0xbf955555, v60
	v_fma_f32 v33, v50, s2, -v42
	v_fmac_f32_e32 v42, 0x3d64c772, v40
	v_fma_f32 v30, v30, s0, -v63
	v_fmac_f32_e32 v63, 0x3eae86e6, v24
	v_fma_f32 v24, v24, s3, -v65
	v_fma_f32 v27, v27, s3, -v67
	v_add_f32_e32 v29, v29, v32
	v_fmac_f32_e32 v64, 0x3ee1c552, v23
	ds_write2_b32 v82, v18, v21 offset1:52
	ds_write2_b32 v82, v48, v58 offset0:104 offset1:156
	v_add_u32_e32 v58, 0x200, v82
	v_fma_f32 v52, v50, s1, -v52
	v_add_f32_e32 v40, v42, v34
	v_add_f32_e32 v42, v44, v32
	;; [unrolled: 1-line block ×4, first 2 shown]
	v_fmac_f32_e32 v20, 0x3ee1c552, v23
	v_fmac_f32_e32 v24, 0x3ee1c552, v28
	;; [unrolled: 1-line block ×3, first 2 shown]
	v_add_f32_e32 v23, v64, v29
	ds_write2_b32 v58, v46, v25 offset0:80 offset1:132
	ds_write2_b32 v39, v16, v43 offset0:56 offset1:108
	;; [unrolled: 1-line block ×5, first 2 shown]
	v_add_u32_e32 v19, 0xa00, v15
	v_add_f32_e32 v44, v52, v34
	v_fmac_f32_e32 v63, 0x3ee1c552, v28
	v_fmac_f32_e32 v30, 0x3ee1c552, v28
	v_add_f32_e32 v28, v27, v32
	v_sub_f32_e32 v65, v33, v24
	v_sub_f32_e32 v45, v42, v20
	v_add_f32_e32 v20, v20, v42
	v_add_f32_e32 v68, v24, v33
	v_sub_f32_e32 v24, v29, v64
	ds_write2_b32 v19, v36, v23 offset0:88 offset1:140
	v_add_u32_e32 v23, 0xc00, v15
	v_add_u32_e32 v17, 0xa00, v82
	v_sub_f32_e32 v34, v40, v63
	v_add_f32_e32 v67, v30, v44
	v_sub_f32_e32 v30, v44, v30
	v_sub_f32_e32 v27, v32, v27
	v_add_f32_e32 v63, v63, v40
	ds_write2_b32 v23, v28, v45 offset0:64 offset1:116
	ds_write2_b32 v23, v20, v27 offset0:168 offset1:220
	ds_write_b32 v15, v24 offset:4160
	s_waitcnt lgkmcnt(0)
	; wave barrier
	s_waitcnt lgkmcnt(0)
	ds_read_b32 v50, v82
	ds_read_b32 v52, v11
	ds_read2_b32 v[44:45], v17 offset0:88 offset1:140
	ds_read2_b32 v[40:41], v39 offset0:160 offset1:212
	;; [unrolled: 1-line block ×6, first 2 shown]
	ds_read_b32 v42, v3
	ds_read_b32 v36, v5
	;; [unrolled: 1-line block ×6, first 2 shown]
	ds_read_b32 v18, v82 offset:4160
	s_waitcnt lgkmcnt(0)
	; wave barrier
	s_waitcnt lgkmcnt(0)
	ds_write2_b32 v82, v55, v53 offset1:52
	ds_write2_b32 v82, v56, v59 offset0:104 offset1:156
	ds_write2_b32 v58, v54, v13 offset0:80 offset1:132
	;; [unrolled: 1-line block ×9, first 2 shown]
	ds_write_b32 v15, v63 offset:4160
	s_waitcnt lgkmcnt(0)
	; wave barrier
	s_waitcnt lgkmcnt(0)
	s_and_saveexec_b64 s[0:1], vcc
	s_cbranch_execz .LBB0_39
; %bb.38:
	v_mov_b32_e32 v13, 0
	v_mov_b32_e32 v15, v13
	v_lshl_add_u64 v[14:15], v[14:15], 3, s[4:5]
	global_load_dwordx4 v[54:57], v[14:15], off offset:2896
	ds_read2_b32 v[62:63], v17 offset0:88 offset1:140
	ds_read_b32 v17, v84
	ds_read_b32 v23, v9
	;; [unrolled: 1-line block ×7, first 2 shown]
	ds_read_b32 v14, v82 offset:4160
	ds_read_b32 v51, v82
	v_mov_b32_e32 v11, v13
	v_lshl_add_u64 v[10:11], v[10:11], 3, s[4:5]
	global_load_dwordx4 v[58:61], v[10:11], off offset:2896
	v_mad_u64_u32 v[66:67], s[0:1], s8, v78, 0
	v_mov_b32_e32 v5, v13
	v_mov_b32_e32 v3, v13
	;; [unrolled: 1-line block ×3, first 2 shown]
	v_add_u32_e32 v15, 0x800, v82
	v_add_u32_e32 v19, 0xc00, v82
	;; [unrolled: 1-line block ×3, first 2 shown]
	v_lshl_add_u64 v[82:83], v[4:5], 3, s[4:5]
	v_lshl_add_u64 v[2:3], v[2:3], 3, s[4:5]
	v_mad_u64_u32 v[4:5], s[2:3], s9, v78, v[70:71]
	v_mov_b32_e32 v67, v4
	global_load_dwordx4 v[2:5], v[2:3], off offset:2896
	v_add_u32_e32 v65, 0x16c, v78
	v_add_u32_e32 v81, 0x2d8, v78
	v_mad_u64_u32 v[72:73], s[2:3], s8, v65, 0
	v_mad_u64_u32 v[74:75], s[2:3], s8, v81, 0
	v_mov_b32_e32 v70, v73
	v_mov_b32_e32 v84, v75
	v_mad_u64_u32 v[68:69], s[2:3], s8, v79, 0
	v_mad_u64_u32 v[70:71], s[2:3], s9, v65, v[70:71]
	;; [unrolled: 1-line block ×3, first 2 shown]
	v_mov_b32_e32 v76, v69
	v_mov_b32_e32 v73, v70
	v_mov_b32_e32 v75, v84
	v_mad_u64_u32 v[76:77], s[2:3], s9, v79, v[76:77]
	v_lshl_add_u64 v[70:71], v[72:73], 3, v[0:1]
	v_lshl_add_u64 v[72:73], v[74:75], 3, v[0:1]
	;; [unrolled: 1-line block ×3, first 2 shown]
	v_mov_b32_e32 v9, v13
	v_mov_b32_e32 v7, v13
	ds_read2_b32 v[12:13], v53 offset0:160 offset1:212
	v_mov_b32_e32 v69, v76
	s_movk_i32 s1, 0x2d8
	s_mov_b32 s0, 0x3f5db3d7
	v_add_u32_e32 v86, 0x1a0, v78
	v_lshl_add_u64 v[66:67], v[66:67], 3, v[0:1]
	ds_read2_b32 v[10:11], v15 offset0:112 offset1:164
	ds_read2_b32 v[30:31], v19 offset0:168 offset1:220
	;; [unrolled: 1-line block ×4, first 2 shown]
	v_add_u32_e32 v15, 0x30c, v78
	v_lshl_add_u64 v[68:69], v[68:69], 3, v[0:1]
	v_lshl_add_u64 v[6:7], v[6:7], 3, s[4:5]
	;; [unrolled: 1-line block ×3, first 2 shown]
	s_waitcnt vmcnt(2) lgkmcnt(7)
	v_pk_mul_f32 v[64:65], v[54:55], v[64:65] op_sel_hi:[1,0]
	v_pk_mul_f32 v[74:75], v[56:57], v[62:63] op_sel_hi:[1,0]
	v_pk_fma_f32 v[76:77], v[52:53], v[54:55], v[64:65] op_sel:[0,0,1] op_sel_hi:[1,1,0] neg_lo:[0,0,1] neg_hi:[0,0,1]
	v_pk_fma_f32 v[52:53], v[52:53], v[54:55], v[64:65] op_sel:[0,0,1] op_sel_hi:[0,1,0]
	v_pk_fma_f32 v[54:55], v[44:45], v[56:57], v[74:75] op_sel:[0,0,1] op_sel_hi:[1,1,0] neg_lo:[0,0,1] neg_hi:[0,0,1]
	v_pk_fma_f32 v[56:57], v[44:45], v[56:57], v[74:75] op_sel:[0,0,1] op_sel_hi:[0,1,0]
	v_mov_b32_e32 v77, v53
	v_mov_b32_e32 v55, v57
	v_pk_add_f32 v[52:53], v[76:77], v[54:55]
	v_pk_add_f32 v[56:57], v[76:77], v[54:55] neg_lo:[0,1] neg_hi:[0,1]
	s_waitcnt lgkmcnt(5)
	v_pk_add_f32 v[64:65], v[50:51], v[76:77]
	v_pk_fma_f32 v[50:51], v[52:53], 0.5, v[50:51] op_sel_hi:[1,0,1] neg_lo:[1,0,0] neg_hi:[1,0,0]
	v_pk_mul_f32 v[52:53], v[56:57], s[0:1] op_sel_hi:[1,0]
	v_pk_add_f32 v[54:55], v[64:65], v[54:55]
	v_pk_add_f32 v[56:57], v[50:51], v[52:53] op_sel:[0,1] op_sel_hi:[1,0] neg_lo:[0,1] neg_hi:[0,1]
	v_pk_add_f32 v[50:51], v[50:51], v[52:53] op_sel:[0,1] op_sel_hi:[1,0]
	v_mov_b32_e32 v53, v57
	v_mov_b32_e32 v52, v50
	;; [unrolled: 1-line block ×3, first 2 shown]
	v_mad_u64_u32 v[50:51], s[2:3], s8, v86, 0
	v_mov_b32_e32 v44, v51
	global_store_dwordx2 v[66:67], v[54:55], off
	global_store_dwordx2 v[70:71], v[52:53], off
	;; [unrolled: 1-line block ×3, first 2 shown]
	v_mad_u64_u32 v[52:53], s[2:3], s9, v86, v[44:45]
	v_mov_b32_e32 v51, v52
	v_lshl_add_u64 v[52:53], v[50:51], 3, v[0:1]
	v_mad_u64_u32 v[50:51], s[2:3], s8, v15, 0
	v_mov_b32_e32 v44, v51
	v_mad_u64_u32 v[54:55], s[2:3], s9, v15, v[44:45]
	v_mov_b32_e32 v51, v54
	v_lshl_add_u64 v[54:55], v[50:51], 3, v[0:1]
	s_waitcnt vmcnt(4) lgkmcnt(4)
	v_pk_mul_f32 v[50:51], v[58:59], v[12:13] op_sel_hi:[1,0]
	v_mov_b32_e32 v44, v63
	v_pk_fma_f32 v[56:57], v[40:41], v[58:59], v[50:51] op_sel:[0,0,1] op_sel_hi:[1,1,0] neg_lo:[0,0,1] neg_hi:[0,0,1]
	v_pk_fma_f32 v[50:51], v[40:41], v[58:59], v[50:51] op_sel:[0,0,1] op_sel_hi:[0,1,0]
	v_mov_b32_e32 v12, v45
	v_mov_b32_e32 v40, v45
	v_pk_mul_f32 v[44:45], v[60:61], v[44:45] op_sel_hi:[1,0]
	v_mov_b32_e32 v57, v51
	v_pk_fma_f32 v[50:51], v[12:13], v[60:61], v[44:45] op_sel:[0,0,1] op_sel_hi:[1,1,0] neg_lo:[0,0,1] neg_hi:[0,0,1]
	v_pk_fma_f32 v[44:45], v[40:41], v[60:61], v[44:45] op_sel:[0,0,1] op_sel_hi:[0,1,0]
	v_mov_b32_e32 v51, v45
	v_pk_add_f32 v[44:45], v[56:57], v[50:51]
	v_pk_add_f32 v[58:59], v[56:57], v[50:51] neg_lo:[0,1] neg_hi:[0,1]
	v_pk_fma_f32 v[44:45], v[44:45], 0.5, v[48:49] op_sel_hi:[1,0,1] neg_lo:[1,0,0] neg_hi:[1,0,0]
	v_pk_add_f32 v[48:49], v[48:49], v[56:57]
	v_pk_mul_f32 v[58:59], v[58:59], s[0:1] op_sel_hi:[1,0]
	v_pk_add_f32 v[56:57], v[48:49], v[50:51]
	global_load_dwordx4 v[48:51], v[82:83], off offset:2896
	v_pk_add_f32 v[60:61], v[44:45], v[58:59] op_sel:[0,1] op_sel_hi:[1,0] neg_lo:[0,1] neg_hi:[0,1]
	v_pk_add_f32 v[44:45], v[44:45], v[58:59] op_sel:[0,1] op_sel_hi:[1,0]
	v_add_u32_e32 v15, 0x68, v78
	global_store_dwordx2 v[68:69], v[56:57], off
	v_mov_b32_e32 v56, v44
	v_mov_b32_e32 v57, v61
	;; [unrolled: 1-line block ×3, first 2 shown]
	v_mad_u64_u32 v[44:45], s[2:3], s8, v15, 0
	v_mov_b32_e32 v12, v45
	global_store_dwordx2 v[52:53], v[56:57], off
	v_mad_u64_u32 v[52:53], s[2:3], s9, v15, v[12:13]
	v_add_u32_e32 v15, 0x1d4, v78
	v_mov_b32_e32 v45, v52
	v_mad_u64_u32 v[52:53], s[2:3], s8, v15, 0
	v_mov_b32_e32 v12, v53
	global_store_dwordx2 v[54:55], v[60:61], off
	v_mad_u64_u32 v[54:55], s[2:3], s9, v15, v[12:13]
	v_or_b32_e32 v15, 0x340, v78
	v_mov_b32_e32 v53, v54
	v_mad_u64_u32 v[54:55], s[2:3], s8, v15, 0
	v_mov_b32_e32 v12, v55
	v_mad_u64_u32 v[56:57], s[2:3], s9, v15, v[12:13]
	v_mov_b32_e32 v55, v56
	v_mov_b32_e32 v56, v13
	;; [unrolled: 1-line block ×4, first 2 shown]
	s_waitcnt vmcnt(7)
	v_pk_mul_f32 v[56:57], v[2:3], v[56:57] op_sel_hi:[1,0]
	v_lshl_add_u64 v[44:45], v[44:45], 3, v[0:1]
	v_pk_fma_f32 v[12:13], v[12:13], v[2:3], v[56:57] op_sel:[0,0,1] op_sel_hi:[1,1,0] neg_lo:[0,0,1] neg_hi:[0,0,1]
	v_pk_fma_f32 v[2:3], v[40:41], v[2:3], v[56:57] op_sel:[0,0,1] op_sel_hi:[0,1,0]
	v_mov_b32_e32 v13, v3
	s_waitcnt lgkmcnt(0)
	v_pk_mul_f32 v[2:3], v[4:5], v[46:47] op_sel_hi:[1,0]
	v_lshl_add_u64 v[52:53], v[52:53], 3, v[0:1]
	v_pk_fma_f32 v[40:41], v[32:33], v[4:5], v[2:3] op_sel:[0,0,1] op_sel_hi:[1,1,0] neg_lo:[0,0,1] neg_hi:[0,0,1]
	v_pk_fma_f32 v[2:3], v[32:33], v[4:5], v[2:3] op_sel:[0,0,1] op_sel_hi:[0,1,0]
	v_mov_b32_e32 v41, v3
	v_pk_add_f32 v[2:3], v[12:13], v[40:41]
	v_pk_add_f32 v[4:5], v[12:13], v[40:41] neg_lo:[0,1] neg_hi:[0,1]
	v_pk_fma_f32 v[2:3], v[2:3], 0.5, v[42:43] op_sel_hi:[1,0,1] neg_lo:[1,0,0] neg_hi:[1,0,0]
	v_pk_mul_f32 v[4:5], v[4:5], s[0:1] op_sel_hi:[1,0]
	v_add_u32_e32 v15, 0x374, v78
	v_pk_add_f32 v[56:57], v[2:3], v[4:5] op_sel:[0,1] op_sel_hi:[1,0] neg_lo:[0,1] neg_hi:[0,1]
	v_pk_add_f32 v[2:3], v[2:3], v[4:5] op_sel:[0,1] op_sel_hi:[1,0]
	v_pk_add_f32 v[4:5], v[42:43], v[12:13]
	v_add_u32_e32 v13, 0x9c, v78
	v_pk_add_f32 v[4:5], v[4:5], v[40:41]
	global_store_dwordx2 v[44:45], v[4:5], off
	v_mov_b32_e32 v4, v2
	v_mov_b32_e32 v5, v57
	global_store_dwordx2 v[52:53], v[4:5], off
	v_mov_b32_e32 v57, v3
	global_load_dwordx4 v[2:5], v[6:7], off offset:2896
	v_mad_u64_u32 v[6:7], s[2:3], s8, v13, 0
	v_mov_b32_e32 v12, v7
	v_mad_u64_u32 v[12:13], s[2:3], s9, v13, v[12:13]
	v_mov_b32_e32 v7, v12
	;; [unrolled: 2-line block ×6, first 2 shown]
	v_mov_b32_e32 v32, v33
	v_lshl_add_u64 v[54:55], v[54:55], 3, v[0:1]
	v_lshl_add_u64 v[6:7], v[6:7], 3, v[0:1]
	s_waitcnt vmcnt(6)
	v_pk_mul_f32 v[42:43], v[48:49], v[38:39] op_sel_hi:[1,0]
	v_mov_b32_e32 v38, v47
	v_pk_fma_f32 v[44:45], v[28:29], v[48:49], v[42:43] op_sel:[0,0,1] op_sel_hi:[1,1,0] neg_lo:[0,0,1] neg_hi:[0,0,1]
	v_pk_fma_f32 v[42:43], v[28:29], v[48:49], v[42:43] op_sel:[0,0,1] op_sel_hi:[0,1,0]
	v_mov_b32_e32 v45, v43
	v_mov_b32_e32 v28, v33
	v_pk_mul_f32 v[42:43], v[50:51], v[38:39] op_sel_hi:[1,0]
	global_store_dwordx2 v[54:55], v[56:57], off
	v_pk_fma_f32 v[46:47], v[28:29], v[50:51], v[42:43] op_sel:[0,0,1] op_sel_hi:[1,1,0] neg_lo:[0,0,1] neg_hi:[0,0,1]
	v_pk_fma_f32 v[32:33], v[32:33], v[50:51], v[42:43] op_sel:[0,0,1] op_sel_hi:[0,1,0]
	v_mov_b32_e32 v47, v33
	v_pk_add_f32 v[32:33], v[44:45], v[46:47]
	v_pk_add_f32 v[42:43], v[44:45], v[46:47] neg_lo:[0,1] neg_hi:[0,1]
	v_pk_fma_f32 v[32:33], v[32:33], 0.5, v[36:37] op_sel_hi:[1,0,1] neg_lo:[1,0,0] neg_hi:[1,0,0]
	v_pk_mul_f32 v[42:43], v[42:43], s[0:1] op_sel_hi:[1,0]
	v_pk_add_f32 v[36:37], v[36:37], v[44:45]
	v_pk_add_f32 v[48:49], v[32:33], v[42:43] op_sel:[0,1] op_sel_hi:[1,0] neg_lo:[0,1] neg_hi:[0,1]
	v_pk_add_f32 v[32:33], v[32:33], v[42:43] op_sel:[0,1] op_sel_hi:[1,0]
	v_pk_add_f32 v[36:37], v[36:37], v[46:47]
	v_lshl_add_u64 v[12:13], v[12:13], 3, v[0:1]
	global_store_dwordx2 v[6:7], v[36:37], off
	v_mov_b32_e32 v6, v32
	v_mov_b32_e32 v7, v49
	global_store_dwordx2 v[12:13], v[6:7], off
	v_add_u32_e32 v12, 0xd0, v78
	v_lshrrev_b32_e32 v6, 2, v12
	s_mov_b32 s2, 0x5a05a05b
	v_mul_hi_u32 v13, v6, s2
	v_lshrrev_b32_e32 v13, 5, v13
	global_load_dwordx4 v[6:9], v[8:9], off offset:2896
	v_mad_u32_u24 v15, v13, s1, v12
	v_mad_u64_u32 v[12:13], s[4:5], s8, v15, 0
	v_mov_b32_e32 v28, v13
	v_mov_b32_e32 v49, v33
	v_mad_u64_u32 v[32:33], s[4:5], s9, v15, v[28:29]
	v_add_u32_e32 v19, 0x16c, v15
	v_mov_b32_e32 v13, v32
	v_mad_u64_u32 v[32:33], s[4:5], s8, v19, 0
	v_mov_b32_e32 v28, v33
	v_mad_u64_u32 v[36:37], s[4:5], s9, v19, v[28:29]
	v_add_u32_e32 v15, 0x2d8, v15
	v_mov_b32_e32 v33, v36
	v_mad_u64_u32 v[36:37], s[4:5], s8, v15, 0
	v_lshl_add_u64 v[40:41], v[40:41], 3, v[0:1]
	v_mov_b32_e32 v28, v37
	global_store_dwordx2 v[40:41], v[48:49], off
	v_mad_u64_u32 v[40:41], s[4:5], s9, v15, v[28:29]
	v_mov_b32_e32 v37, v40
	v_mov_b32_e32 v40, v39
	;; [unrolled: 1-line block ×4, first 2 shown]
	v_lshl_add_u64 v[12:13], v[12:13], 3, v[0:1]
	s_waitcnt vmcnt(5)
	v_pk_mul_f32 v[40:41], v[2:3], v[40:41] op_sel_hi:[1,0]
	v_lshl_add_u64 v[32:33], v[32:33], 3, v[0:1]
	v_pk_fma_f32 v[28:29], v[28:29], v[2:3], v[40:41] op_sel:[0,0,1] op_sel_hi:[1,1,0] neg_lo:[0,0,1] neg_hi:[0,0,1]
	v_pk_fma_f32 v[2:3], v[38:39], v[2:3], v[40:41] op_sel:[0,0,1] op_sel_hi:[0,1,0]
	v_mov_b32_e32 v29, v3
	v_pk_mul_f32 v[2:3], v[4:5], v[30:31] op_sel_hi:[1,0]
	v_lshl_add_u64 v[36:37], v[36:37], 3, v[0:1]
	v_pk_fma_f32 v[38:39], v[24:25], v[4:5], v[2:3] op_sel:[0,0,1] op_sel_hi:[1,1,0] neg_lo:[0,0,1] neg_hi:[0,0,1]
	v_pk_fma_f32 v[2:3], v[24:25], v[4:5], v[2:3] op_sel:[0,0,1] op_sel_hi:[0,1,0]
	v_mov_b32_e32 v39, v3
	v_pk_add_f32 v[2:3], v[28:29], v[38:39]
	v_pk_add_f32 v[4:5], v[28:29], v[38:39] neg_lo:[0,1] neg_hi:[0,1]
	v_pk_fma_f32 v[2:3], v[2:3], 0.5, v[26:27] op_sel_hi:[1,0,1] neg_lo:[1,0,0] neg_hi:[1,0,0]
	v_pk_mul_f32 v[4:5], v[4:5], s[0:1] op_sel_hi:[1,0]
	s_nop 0
	v_pk_add_f32 v[40:41], v[2:3], v[4:5] op_sel:[0,1] op_sel_hi:[1,0] neg_lo:[0,1] neg_hi:[0,1]
	v_pk_add_f32 v[2:3], v[2:3], v[4:5] op_sel:[0,1] op_sel_hi:[1,0]
	v_pk_add_f32 v[4:5], v[26:27], v[28:29]
	s_nop 0
	v_pk_add_f32 v[4:5], v[4:5], v[38:39]
	global_store_dwordx2 v[12:13], v[4:5], off
	v_mov_b32_e32 v4, v2
	v_add_u32_e32 v2, 0x104, v78
	v_mov_b32_e32 v5, v41
	v_mov_b32_e32 v41, v3
	v_lshrrev_b32_e32 v3, 2, v2
	v_mul_hi_u32 v3, v3, s2
	v_lshrrev_b32_e32 v3, 5, v3
	global_store_dwordx2 v[32:33], v[4:5], off
	v_mad_u32_u24 v15, v3, s1, v2
	global_load_dwordx4 v[2:5], v[34:35], off offset:2896
	v_mad_u64_u32 v[12:13], s[4:5], s8, v15, 0
	v_mov_b32_e32 v24, v13
	v_mad_u64_u32 v[26:27], s[4:5], s9, v15, v[24:25]
	v_add_u32_e32 v19, 0x16c, v15
	v_mov_b32_e32 v13, v26
	v_mad_u64_u32 v[26:27], s[4:5], s8, v19, 0
	v_mov_b32_e32 v24, v27
	v_mad_u64_u32 v[28:29], s[4:5], s9, v19, v[24:25]
	v_add_u32_e32 v15, 0x2d8, v15
	v_mov_b32_e32 v27, v28
	v_mad_u64_u32 v[28:29], s[4:5], s8, v15, 0
	v_mov_b32_e32 v24, v29
	v_mad_u64_u32 v[32:33], s[4:5], s9, v15, v[24:25]
	v_mov_b32_e32 v29, v32
	s_waitcnt vmcnt(4)
	v_pk_mul_f32 v[32:33], v[6:7], v[10:11] op_sel_hi:[1,0]
	v_mov_b32_e32 v10, v25
	v_pk_fma_f32 v[34:35], v[20:21], v[6:7], v[32:33] op_sel:[0,0,1] op_sel_hi:[1,1,0] neg_lo:[0,0,1] neg_hi:[0,0,1]
	v_pk_fma_f32 v[6:7], v[20:21], v[6:7], v[32:33] op_sel:[0,0,1] op_sel_hi:[0,1,0]
	v_mov_b32_e32 v20, v31
	v_mov_b32_e32 v6, v25
	v_pk_mul_f32 v[24:25], v[8:9], v[20:21] op_sel_hi:[1,0]
	v_mov_b32_e32 v35, v7
	v_pk_fma_f32 v[6:7], v[6:7], v[8:9], v[24:25] op_sel:[0,0,1] op_sel_hi:[1,1,0] neg_lo:[0,0,1] neg_hi:[0,0,1]
	v_pk_fma_f32 v[8:9], v[10:11], v[8:9], v[24:25] op_sel:[0,0,1] op_sel_hi:[0,1,0]
	v_mov_b32_e32 v7, v9
	v_pk_add_f32 v[8:9], v[34:35], v[6:7]
	v_pk_add_f32 v[24:25], v[34:35], v[6:7] neg_lo:[0,1] neg_hi:[0,1]
	v_pk_fma_f32 v[8:9], v[8:9], 0.5, v[22:23] op_sel_hi:[1,0,1] neg_lo:[1,0,0] neg_hi:[1,0,0]
	v_pk_mul_f32 v[24:25], v[24:25], s[0:1] op_sel_hi:[1,0]
	v_pk_add_f32 v[22:23], v[22:23], v[34:35]
	v_lshl_add_u64 v[12:13], v[12:13], 3, v[0:1]
	v_pk_add_f32 v[30:31], v[8:9], v[24:25] op_sel:[0,1] op_sel_hi:[1,0] neg_lo:[0,1] neg_hi:[0,1]
	v_pk_add_f32 v[8:9], v[8:9], v[24:25] op_sel:[0,1] op_sel_hi:[1,0]
	v_pk_add_f32 v[6:7], v[22:23], v[6:7]
	global_store_dwordx2 v[36:37], v[40:41], off
	v_lshl_add_u64 v[26:27], v[26:27], 3, v[0:1]
	global_store_dwordx2 v[12:13], v[6:7], off
	v_mov_b32_e32 v6, v8
	v_mov_b32_e32 v7, v31
	global_store_dwordx2 v[26:27], v[6:7], off
	v_add_u32_e32 v6, 0x138, v78
	v_lshrrev_b32_e32 v7, 2, v6
	v_mul_hi_u32 v7, v7, s2
	v_lshrrev_b32_e32 v7, 5, v7
	v_mad_u32_u24 v15, v7, s1, v6
	v_mad_u64_u32 v[6:7], s[2:3], s8, v15, 0
	v_mov_b32_e32 v8, v7
	v_mov_b32_e32 v31, v9
	v_mad_u64_u32 v[8:9], s[2:3], s9, v15, v[8:9]
	v_add_u32_e32 v12, 0x16c, v15
	v_mov_b32_e32 v7, v8
	v_mad_u64_u32 v[8:9], s[2:3], s8, v12, 0
	v_mov_b32_e32 v10, v9
	v_mad_u64_u32 v[12:13], s[2:3], s9, v12, v[10:11]
	v_add_u32_e32 v15, 0x2d8, v15
	v_mov_b32_e32 v9, v12
	v_mad_u64_u32 v[12:13], s[2:3], s8, v15, 0
	v_mov_b32_e32 v10, v13
	v_mad_u64_u32 v[22:23], s[2:3], s9, v15, v[10:11]
	v_mov_b32_e32 v13, v22
	v_mov_b32_e32 v20, v11
	v_lshl_add_u64 v[28:29], v[28:29], 3, v[0:1]
	v_lshl_add_u64 v[6:7], v[6:7], 3, v[0:1]
	;; [unrolled: 1-line block ×4, first 2 shown]
	v_mov_b32_e32 v10, v21
	v_mov_b32_e32 v12, v21
	s_waitcnt vmcnt(3)
	v_pk_mul_f32 v[20:21], v[2:3], v[20:21] op_sel_hi:[1,0]
	global_store_dwordx2 v[28:29], v[30:31], off
	v_pk_fma_f32 v[10:11], v[10:11], v[2:3], v[20:21] op_sel:[0,0,1] op_sel_hi:[1,1,0] neg_lo:[0,0,1] neg_hi:[0,0,1]
	v_pk_fma_f32 v[2:3], v[12:13], v[2:3], v[20:21] op_sel:[0,0,1] op_sel_hi:[0,1,0]
	v_mov_b32_e32 v11, v3
	v_pk_mul_f32 v[2:3], v[4:5], v[14:15] op_sel_hi:[1,0]
	s_nop 0
	v_pk_fma_f32 v[12:13], v[18:19], v[4:5], v[2:3] op_sel:[0,0,1] op_sel_hi:[1,1,0] neg_lo:[0,0,1] neg_hi:[0,0,1]
	v_pk_fma_f32 v[2:3], v[18:19], v[4:5], v[2:3] op_sel:[0,0,1] op_sel_hi:[0,1,0]
	v_mov_b32_e32 v13, v3
	v_pk_add_f32 v[2:3], v[10:11], v[12:13]
	v_pk_add_f32 v[4:5], v[10:11], v[12:13] neg_lo:[0,1] neg_hi:[0,1]
	v_pk_fma_f32 v[2:3], v[2:3], 0.5, v[16:17] op_sel_hi:[1,0,1] neg_lo:[1,0,0] neg_hi:[1,0,0]
	v_pk_mul_f32 v[4:5], v[4:5], s[0:1] op_sel_hi:[1,0]
	s_nop 0
	v_pk_add_f32 v[14:15], v[2:3], v[4:5] op_sel:[0,1] op_sel_hi:[1,0] neg_lo:[0,1] neg_hi:[0,1]
	v_pk_add_f32 v[2:3], v[2:3], v[4:5] op_sel:[0,1] op_sel_hi:[1,0]
	v_pk_add_f32 v[4:5], v[16:17], v[10:11]
	s_nop 0
	v_pk_add_f32 v[4:5], v[4:5], v[12:13]
	global_store_dwordx2 v[6:7], v[4:5], off
	v_mov_b32_e32 v4, v2
	v_mov_b32_e32 v5, v15
	;; [unrolled: 1-line block ×3, first 2 shown]
	global_store_dwordx2 v[8:9], v[4:5], off
	global_store_dwordx2 v[0:1], v[14:15], off
.LBB0_39:
	s_endpgm
	.section	.rodata,"a",@progbits
	.p2align	6, 0x0
	.amdhsa_kernel fft_rtc_fwd_len1092_factors_2_2_13_7_3_wgs_52_tpt_52_halfLds_sp_ip_CI_sbrr_dirReg
		.amdhsa_group_segment_fixed_size 0
		.amdhsa_private_segment_fixed_size 0
		.amdhsa_kernarg_size 88
		.amdhsa_user_sgpr_count 2
		.amdhsa_user_sgpr_dispatch_ptr 0
		.amdhsa_user_sgpr_queue_ptr 0
		.amdhsa_user_sgpr_kernarg_segment_ptr 1
		.amdhsa_user_sgpr_dispatch_id 0
		.amdhsa_user_sgpr_kernarg_preload_length 0
		.amdhsa_user_sgpr_kernarg_preload_offset 0
		.amdhsa_user_sgpr_private_segment_size 0
		.amdhsa_uses_dynamic_stack 0
		.amdhsa_enable_private_segment 0
		.amdhsa_system_sgpr_workgroup_id_x 1
		.amdhsa_system_sgpr_workgroup_id_y 0
		.amdhsa_system_sgpr_workgroup_id_z 0
		.amdhsa_system_sgpr_workgroup_info 0
		.amdhsa_system_vgpr_workitem_id 0
		.amdhsa_next_free_vgpr 112
		.amdhsa_next_free_sgpr 24
		.amdhsa_accum_offset 112
		.amdhsa_reserve_vcc 1
		.amdhsa_float_round_mode_32 0
		.amdhsa_float_round_mode_16_64 0
		.amdhsa_float_denorm_mode_32 3
		.amdhsa_float_denorm_mode_16_64 3
		.amdhsa_dx10_clamp 1
		.amdhsa_ieee_mode 1
		.amdhsa_fp16_overflow 0
		.amdhsa_tg_split 0
		.amdhsa_exception_fp_ieee_invalid_op 0
		.amdhsa_exception_fp_denorm_src 0
		.amdhsa_exception_fp_ieee_div_zero 0
		.amdhsa_exception_fp_ieee_overflow 0
		.amdhsa_exception_fp_ieee_underflow 0
		.amdhsa_exception_fp_ieee_inexact 0
		.amdhsa_exception_int_div_zero 0
	.end_amdhsa_kernel
	.text
.Lfunc_end0:
	.size	fft_rtc_fwd_len1092_factors_2_2_13_7_3_wgs_52_tpt_52_halfLds_sp_ip_CI_sbrr_dirReg, .Lfunc_end0-fft_rtc_fwd_len1092_factors_2_2_13_7_3_wgs_52_tpt_52_halfLds_sp_ip_CI_sbrr_dirReg
                                        ; -- End function
	.section	.AMDGPU.csdata,"",@progbits
; Kernel info:
; codeLenInByte = 15764
; NumSgprs: 30
; NumVgprs: 112
; NumAgprs: 0
; TotalNumVgprs: 112
; ScratchSize: 0
; MemoryBound: 0
; FloatMode: 240
; IeeeMode: 1
; LDSByteSize: 0 bytes/workgroup (compile time only)
; SGPRBlocks: 3
; VGPRBlocks: 13
; NumSGPRsForWavesPerEU: 30
; NumVGPRsForWavesPerEU: 112
; AccumOffset: 112
; Occupancy: 4
; WaveLimiterHint : 1
; COMPUTE_PGM_RSRC2:SCRATCH_EN: 0
; COMPUTE_PGM_RSRC2:USER_SGPR: 2
; COMPUTE_PGM_RSRC2:TRAP_HANDLER: 0
; COMPUTE_PGM_RSRC2:TGID_X_EN: 1
; COMPUTE_PGM_RSRC2:TGID_Y_EN: 0
; COMPUTE_PGM_RSRC2:TGID_Z_EN: 0
; COMPUTE_PGM_RSRC2:TIDIG_COMP_CNT: 0
; COMPUTE_PGM_RSRC3_GFX90A:ACCUM_OFFSET: 27
; COMPUTE_PGM_RSRC3_GFX90A:TG_SPLIT: 0
	.text
	.p2alignl 6, 3212836864
	.fill 256, 4, 3212836864
	.type	__hip_cuid_5047f5d33bc0dab8,@object ; @__hip_cuid_5047f5d33bc0dab8
	.section	.bss,"aw",@nobits
	.globl	__hip_cuid_5047f5d33bc0dab8
__hip_cuid_5047f5d33bc0dab8:
	.byte	0                               ; 0x0
	.size	__hip_cuid_5047f5d33bc0dab8, 1

	.ident	"AMD clang version 19.0.0git (https://github.com/RadeonOpenCompute/llvm-project roc-6.4.0 25133 c7fe45cf4b819c5991fe208aaa96edf142730f1d)"
	.section	".note.GNU-stack","",@progbits
	.addrsig
	.addrsig_sym __hip_cuid_5047f5d33bc0dab8
	.amdgpu_metadata
---
amdhsa.kernels:
  - .agpr_count:     0
    .args:
      - .actual_access:  read_only
        .address_space:  global
        .offset:         0
        .size:           8
        .value_kind:     global_buffer
      - .offset:         8
        .size:           8
        .value_kind:     by_value
      - .actual_access:  read_only
        .address_space:  global
        .offset:         16
        .size:           8
        .value_kind:     global_buffer
      - .actual_access:  read_only
        .address_space:  global
        .offset:         24
        .size:           8
        .value_kind:     global_buffer
      - .offset:         32
        .size:           8
        .value_kind:     by_value
      - .actual_access:  read_only
        .address_space:  global
        .offset:         40
        .size:           8
        .value_kind:     global_buffer
      - .actual_access:  read_only
        .address_space:  global
        .offset:         48
        .size:           8
        .value_kind:     global_buffer
      - .offset:         56
        .size:           4
        .value_kind:     by_value
      - .actual_access:  read_only
        .address_space:  global
        .offset:         64
        .size:           8
        .value_kind:     global_buffer
      - .actual_access:  read_only
        .address_space:  global
        .offset:         72
        .size:           8
        .value_kind:     global_buffer
      - .address_space:  global
        .offset:         80
        .size:           8
        .value_kind:     global_buffer
    .group_segment_fixed_size: 0
    .kernarg_segment_align: 8
    .kernarg_segment_size: 88
    .language:       OpenCL C
    .language_version:
      - 2
      - 0
    .max_flat_workgroup_size: 52
    .name:           fft_rtc_fwd_len1092_factors_2_2_13_7_3_wgs_52_tpt_52_halfLds_sp_ip_CI_sbrr_dirReg
    .private_segment_fixed_size: 0
    .sgpr_count:     30
    .sgpr_spill_count: 0
    .symbol:         fft_rtc_fwd_len1092_factors_2_2_13_7_3_wgs_52_tpt_52_halfLds_sp_ip_CI_sbrr_dirReg.kd
    .uniform_work_group_size: 1
    .uses_dynamic_stack: false
    .vgpr_count:     112
    .vgpr_spill_count: 0
    .wavefront_size: 64
amdhsa.target:   amdgcn-amd-amdhsa--gfx950
amdhsa.version:
  - 1
  - 2
...

	.end_amdgpu_metadata
